;; amdgpu-corpus repo=ROCm/rocFFT kind=compiled arch=gfx906 opt=O3
	.text
	.amdgcn_target "amdgcn-amd-amdhsa--gfx906"
	.amdhsa_code_object_version 6
	.protected	bluestein_single_fwd_len1701_dim1_dp_op_CI_CI ; -- Begin function bluestein_single_fwd_len1701_dim1_dp_op_CI_CI
	.globl	bluestein_single_fwd_len1701_dim1_dp_op_CI_CI
	.p2align	8
	.type	bluestein_single_fwd_len1701_dim1_dp_op_CI_CI,@function
bluestein_single_fwd_len1701_dim1_dp_op_CI_CI: ; @bluestein_single_fwd_len1701_dim1_dp_op_CI_CI
; %bb.0:
	s_load_dwordx4 s[16:19], s[4:5], 0x28
	s_mov_b64 s[38:39], s[2:3]
	v_mul_u32_u24_e32 v1, 0x411, v0
	s_mov_b64 s[36:37], s[0:1]
	v_add_u32_sdwa v4, s6, v1 dst_sel:DWORD dst_unused:UNUSED_PAD src0_sel:DWORD src1_sel:WORD_1
	v_mov_b32_e32 v5, 0
	s_add_u32 s36, s36, s7
	s_waitcnt lgkmcnt(0)
	v_cmp_gt_u64_e32 vcc, s[16:17], v[4:5]
	s_addc_u32 s37, s37, 0
	s_and_saveexec_b64 s[0:1], vcc
	s_cbranch_execz .LBB0_10
; %bb.1:
	s_load_dwordx4 s[0:3], s[4:5], 0x18
	s_load_dwordx4 s[12:15], s[4:5], 0x0
	v_mov_b32_e32 v2, 63
	v_mul_lo_u16_sdwa v1, v1, v2 dst_sel:DWORD dst_unused:UNUSED_PAD src0_sel:WORD_1 src1_sel:DWORD
	v_sub_u16_e32 v153, v0, v1
	s_waitcnt lgkmcnt(0)
	s_load_dwordx4 s[8:11], s[0:1], 0x0
	v_mov_b32_e32 v5, v4
	buffer_store_dword v5, off, s[36:39], 0 offset:192 ; 4-byte Folded Spill
	s_nop 0
	buffer_store_dword v6, off, s[36:39], 0 offset:196 ; 4-byte Folded Spill
	v_lshlrev_b32_e32 v152, 4, v153
	s_movk_i32 s6, 0x2000
	s_waitcnt lgkmcnt(0)
	v_mad_u64_u32 v[0:1], s[0:1], s10, v4, 0
	v_mad_u64_u32 v[2:3], s[0:1], s8, v153, 0
	s_mul_hi_u32 s7, s8, 0xffffbd10
	s_sub_i32 s7, s7, s8
	v_mad_u64_u32 v[4:5], s[0:1], s11, v4, v[1:2]
	v_mad_u64_u32 v[5:6], s[0:1], s9, v153, v[3:4]
	v_mov_b32_e32 v1, v4
	v_lshlrev_b64 v[0:1], 4, v[0:1]
	v_mov_b32_e32 v6, s19
	v_mov_b32_e32 v3, v5
	v_add_co_u32_e32 v4, vcc, s18, v0
	v_addc_co_u32_e32 v5, vcc, v6, v1, vcc
	v_lshlrev_b64 v[0:1], 4, v[2:3]
	s_mul_i32 s0, s9, 0x2370
	v_add_co_u32_e32 v4, vcc, v4, v0
	v_addc_co_u32_e32 v5, vcc, v5, v1, vcc
	v_mov_b32_e32 v0, s13
	v_add_co_u32_e32 v48, vcc, s12, v152
	s_mul_hi_u32 s1, s8, 0x2370
	v_addc_co_u32_e32 v49, vcc, 0, v0, vcc
	s_add_i32 s0, s1, s0
	s_mul_i32 s1, s8, 0x2370
	v_mov_b32_e32 v0, s0
	v_add_co_u32_e32 v6, vcc, s1, v4
	v_addc_co_u32_e32 v7, vcc, v5, v0, vcc
	v_add_co_u32_e32 v24, vcc, s6, v48
	v_addc_co_u32_e32 v25, vcc, 0, v49, vcc
	global_load_dwordx4 v[50:53], v[4:5], off
	global_load_dwordx4 v[0:3], v[6:7], off
	v_mov_b32_e32 v4, s0
	v_add_co_u32_e32 v8, vcc, s1, v6
	v_addc_co_u32_e32 v9, vcc, v7, v4, vcc
	s_movk_i32 s6, 0x4000
	v_add_co_u32_e32 v44, vcc, s6, v48
	v_addc_co_u32_e32 v45, vcc, 0, v49, vcc
	global_load_dwordx4 v[4:7], v[8:9], off
	global_load_dwordx4 v[64:67], v[44:45], off offset:1760
	global_load_dwordx4 v[104:107], v152, s[12:13]
	global_load_dwordx4 v[68:71], v152, s[12:13] offset:1008
	s_mul_i32 s6, s9, 0xffffbd10
	s_add_i32 s6, s7, s6
	s_mul_i32 s7, s8, 0xffffbd10
	v_mov_b32_e32 v10, s6
	v_add_co_u32_e32 v16, vcc, s7, v8
	v_addc_co_u32_e32 v17, vcc, v9, v10, vcc
	v_mov_b32_e32 v8, s0
	v_add_co_u32_e32 v18, vcc, s1, v16
	v_addc_co_u32_e32 v19, vcc, v17, v8, vcc
	global_load_dwordx4 v[8:11], v[16:17], off
	global_load_dwordx4 v[12:15], v[18:19], off
	global_load_dwordx4 v[60:63], v[24:25], off offset:880
	global_load_dwordx4 v[72:75], v[24:25], off offset:1888
	v_mov_b32_e32 v16, s0
	v_add_co_u32_e32 v20, vcc, s1, v18
	v_addc_co_u32_e32 v21, vcc, v19, v16, vcc
	v_mov_b32_e32 v22, s6
	v_add_co_u32_e32 v26, vcc, s7, v20
	v_addc_co_u32_e32 v27, vcc, v21, v22, vcc
	global_load_dwordx4 v[16:19], v[20:21], off
	global_load_dwordx4 v[76:79], v[44:45], off offset:2768
	v_mov_b32_e32 v28, s0
	global_load_dwordx4 v[20:23], v[26:27], off
	v_add_co_u32_e32 v26, vcc, s1, v26
	v_addc_co_u32_e32 v27, vcc, v27, v28, vcc
	global_load_dwordx4 v[28:31], v[26:27], off
	global_load_dwordx4 v[80:83], v[24:25], off offset:2896
	v_mov_b32_e32 v32, s0
	v_add_co_u32_e32 v26, vcc, s1, v26
	v_addc_co_u32_e32 v27, vcc, v27, v32, vcc
	global_load_dwordx4 v[32:35], v[26:27], off
	global_load_dwordx4 v[84:87], v[44:45], off offset:3776
	v_mov_b32_e32 v36, s6
	v_add_co_u32_e32 v26, vcc, s7, v26
	v_addc_co_u32_e32 v27, vcc, v27, v36, vcc
	global_load_dwordx4 v[36:39], v[26:27], off
	global_load_dwordx4 v[96:99], v152, s[12:13] offset:2016
	global_load_dwordx4 v[88:91], v152, s[12:13] offset:3024
	v_mov_b32_e32 v40, s0
	v_add_co_u32_e32 v26, vcc, s1, v26
	v_addc_co_u32_e32 v27, vcc, v27, v40, vcc
	global_load_dwordx4 v[40:43], v[26:27], off
	global_load_dwordx4 v[92:95], v[24:25], off offset:3904
	v_mov_b32_e32 v24, s0
	v_add_co_u32_e32 v54, vcc, s1, v26
	v_addc_co_u32_e32 v55, vcc, v27, v24, vcc
	s_movk_i32 s8, 0x5000
	v_add_co_u32_e32 v46, vcc, s8, v48
	v_addc_co_u32_e32 v47, vcc, 0, v49, vcc
	global_load_dwordx4 v[24:27], v[54:55], off
	global_load_dwordx4 v[100:103], v[46:47], off offset:688
	s_waitcnt vmcnt(19)
	v_mul_f64 v[56:57], v[52:53], v[106:107]
	v_mul_f64 v[58:59], v[50:51], v[106:107]
	v_fma_f64 v[50:51], v[50:51], v[104:105], v[56:57]
	buffer_store_dword v104, off, s[36:39], 0 offset:216 ; 4-byte Folded Spill
	s_nop 0
	buffer_store_dword v105, off, s[36:39], 0 offset:220 ; 4-byte Folded Spill
	buffer_store_dword v106, off, s[36:39], 0 offset:224 ; 4-byte Folded Spill
	buffer_store_dword v107, off, s[36:39], 0 offset:228 ; 4-byte Folded Spill
	s_load_dwordx4 s[8:11], s[2:3], 0x0
	s_waitcnt vmcnt(19)
	v_mul_f64 v[56:57], v[2:3], v[62:63]
	v_fma_f64 v[52:53], v[52:53], v[104:105], -v[58:59]
	v_mul_f64 v[58:59], v[0:1], v[62:63]
	global_load_dwordx4 v[104:107], v[44:45], off offset:752
	v_fma_f64 v[0:1], v[0:1], v[60:61], v[56:57]
	v_mul_f64 v[44:45], v[6:7], v[66:67]
	s_waitcnt vmcnt(19)
	v_mul_f64 v[56:57], v[14:15], v[74:75]
	ds_write_b128 v152, v[50:53]
	buffer_store_dword v60, off, s[36:39], 0 offset:80 ; 4-byte Folded Spill
	s_nop 0
	buffer_store_dword v61, off, s[36:39], 0 offset:84 ; 4-byte Folded Spill
	buffer_store_dword v62, off, s[36:39], 0 offset:88 ; 4-byte Folded Spill
	;; [unrolled: 1-line block ×3, first 2 shown]
	v_mul_f64 v[50:51], v[4:5], v[66:67]
	v_mul_f64 v[52:53], v[8:9], v[70:71]
	v_fma_f64 v[4:5], v[4:5], v[64:65], v[44:45]
	v_mul_f64 v[44:45], v[10:11], v[70:71]
	buffer_store_dword v64, off, s[36:39], 0 offset:16 ; 4-byte Folded Spill
	s_nop 0
	buffer_store_dword v65, off, s[36:39], 0 offset:20 ; 4-byte Folded Spill
	buffer_store_dword v66, off, s[36:39], 0 offset:24 ; 4-byte Folded Spill
	;; [unrolled: 1-line block ×3, first 2 shown]
	s_waitcnt vmcnt(25)
	v_mul_f64 v[62:63], v[16:17], v[78:79]
	v_fma_f64 v[2:3], v[2:3], v[60:61], -v[58:59]
	v_mul_f64 v[58:59], v[12:13], v[74:75]
	v_mul_f64 v[60:61], v[18:19], v[78:79]
	v_fma_f64 v[6:7], v[6:7], v[64:65], -v[50:51]
	ds_write_b128 v152, v[0:3] offset:9072
	v_fma_f64 v[0:1], v[8:9], v[68:69], v[44:45]
	buffer_store_dword v68, off, s[36:39], 0 offset:32 ; 4-byte Folded Spill
	s_nop 0
	buffer_store_dword v69, off, s[36:39], 0 offset:36 ; 4-byte Folded Spill
	buffer_store_dword v70, off, s[36:39], 0 offset:40 ; 4-byte Folded Spill
	;; [unrolled: 1-line block ×3, first 2 shown]
	v_fma_f64 v[8:9], v[12:13], v[72:73], v[56:57]
	buffer_store_dword v72, off, s[36:39], 0 offset:48 ; 4-byte Folded Spill
	s_nop 0
	buffer_store_dword v73, off, s[36:39], 0 offset:52 ; 4-byte Folded Spill
	buffer_store_dword v74, off, s[36:39], 0 offset:56 ; 4-byte Folded Spill
	;; [unrolled: 1-line block ×3, first 2 shown]
	v_add_co_u32_e32 v12, vcc, 63, v153
	v_addc_co_u32_e64 v13, s[2:3], 0, 0, vcc
	s_movk_i32 s2, 0x7e
	s_mov_b32 s3, 0xbfebb67a
	v_fma_f64 v[2:3], v[10:11], v[68:69], -v[52:53]
	v_fma_f64 v[10:11], v[14:15], v[72:73], -v[58:59]
	v_fma_f64 v[14:15], v[16:17], v[76:77], v[60:61]
	buffer_store_dword v76, off, s[36:39], 0 offset:64 ; 4-byte Folded Spill
	s_nop 0
	buffer_store_dword v77, off, s[36:39], 0 offset:68 ; 4-byte Folded Spill
	buffer_store_dword v78, off, s[36:39], 0 offset:72 ; 4-byte Folded Spill
	;; [unrolled: 1-line block ×3, first 2 shown]
	ds_write_b128 v152, v[4:7] offset:18144
	s_waitcnt vmcnt(34)
	v_mul_f64 v[4:5], v[30:31], v[82:83]
	v_add_co_u32_e32 v6, vcc, s2, v153
	s_movk_i32 s2, 0x3000
	v_fma_f64 v[16:17], v[18:19], v[76:77], -v[62:63]
	ds_write_b128 v152, v[0:3] offset:1008
	ds_write_b128 v152, v[8:11] offset:10080
	;; [unrolled: 1-line block ×3, first 2 shown]
	s_waitcnt vmcnt(30)
	v_mul_f64 v[0:1], v[22:23], v[98:99]
	v_mul_f64 v[14:15], v[34:35], v[86:87]
	;; [unrolled: 1-line block ×4, first 2 shown]
	v_fma_f64 v[7:8], v[28:29], v[80:81], v[4:5]
	v_mul_f64 v[16:17], v[32:33], v[86:87]
	s_waitcnt vmcnt(29)
	v_mul_f64 v[4:5], v[38:39], v[90:91]
	v_mul_f64 v[18:19], v[36:37], v[90:91]
	v_fma_f64 v[0:1], v[20:21], v[96:97], v[0:1]
	buffer_store_dword v96, off, s[36:39], 0 offset:160 ; 4-byte Folded Spill
	s_nop 0
	buffer_store_dword v97, off, s[36:39], 0 offset:164 ; 4-byte Folded Spill
	buffer_store_dword v98, off, s[36:39], 0 offset:168 ; 4-byte Folded Spill
	buffer_store_dword v99, off, s[36:39], 0 offset:172 ; 4-byte Folded Spill
	buffer_store_dword v80, off, s[36:39], 0 offset:96 ; 4-byte Folded Spill
	s_nop 0
	buffer_store_dword v81, off, s[36:39], 0 offset:100 ; 4-byte Folded Spill
	buffer_store_dword v82, off, s[36:39], 0 offset:104 ; 4-byte Folded Spill
	;; [unrolled: 1-line block ×3, first 2 shown]
	v_fma_f64 v[14:15], v[32:33], v[84:85], v[14:15]
	buffer_store_dword v84, off, s[36:39], 0 offset:112 ; 4-byte Folded Spill
	s_nop 0
	buffer_store_dword v85, off, s[36:39], 0 offset:116 ; 4-byte Folded Spill
	buffer_store_dword v86, off, s[36:39], 0 offset:120 ; 4-byte Folded Spill
	;; [unrolled: 1-line block ×3, first 2 shown]
	s_waitcnt vmcnt(39)
	v_mul_f64 v[20:21], v[42:43], v[94:95]
	global_load_dwordx4 v[116:119], v[46:47], off offset:1696
	s_waitcnt vmcnt(38)
	v_mul_f64 v[28:29], v[26:27], v[102:103]
	v_mov_b32_e32 v11, s6
	v_fma_f64 v[2:3], v[22:23], v[96:97], -v[2:3]
	v_fma_f64 v[9:10], v[30:31], v[80:81], -v[9:10]
	v_mul_f64 v[22:23], v[40:41], v[94:95]
	v_fma_f64 v[16:17], v[34:35], v[84:85], -v[16:17]
	ds_write_b128 v152, v[0:3] offset:2016
	ds_write_b128 v152, v[7:10] offset:11088
	;; [unrolled: 1-line block ×3, first 2 shown]
	v_fma_f64 v[0:1], v[36:37], v[88:89], v[4:5]
	buffer_store_dword v88, off, s[36:39], 0 offset:128 ; 4-byte Folded Spill
	s_nop 0
	buffer_store_dword v89, off, s[36:39], 0 offset:132 ; 4-byte Folded Spill
	buffer_store_dword v90, off, s[36:39], 0 offset:136 ; 4-byte Folded Spill
	buffer_store_dword v91, off, s[36:39], 0 offset:140 ; 4-byte Folded Spill
	v_fma_f64 v[7:8], v[40:41], v[92:93], v[20:21]
	buffer_store_dword v92, off, s[36:39], 0 offset:144 ; 4-byte Folded Spill
	s_nop 0
	buffer_store_dword v93, off, s[36:39], 0 offset:148 ; 4-byte Folded Spill
	buffer_store_dword v94, off, s[36:39], 0 offset:152 ; 4-byte Folded Spill
	buffer_store_dword v95, off, s[36:39], 0 offset:156 ; 4-byte Folded Spill
	v_add_co_u32_e32 v16, vcc, s7, v54
	v_addc_co_u32_e32 v17, vcc, v55, v11, vcc
	v_mov_b32_e32 v11, s0
	v_fma_f64 v[14:15], v[24:25], v[100:101], v[28:29]
	v_mul_f64 v[4:5], v[24:25], v[102:103]
	v_fma_f64 v[2:3], v[38:39], v[88:89], -v[18:19]
	global_load_dwordx4 v[18:21], v[16:17], off
	global_load_dwordx4 v[136:139], v152, s[12:13] offset:4032
	v_add_co_u32_e32 v16, vcc, s1, v16
	v_addc_co_u32_e32 v17, vcc, v17, v11, vcc
	v_add_co_u32_e32 v66, vcc, s2, v48
	v_addc_co_u32_e32 v67, vcc, 0, v49, vcc
	v_fma_f64 v[9:10], v[42:43], v[92:93], -v[22:23]
	global_load_dwordx4 v[22:25], v[16:17], off
	v_add_co_u32_e32 v16, vcc, s1, v16
	v_addc_co_u32_e32 v17, vcc, v17, v11, vcc
	global_load_dwordx4 v[28:31], v[16:17], off
	v_mov_b32_e32 v11, s6
	v_add_co_u32_e32 v16, vcc, s7, v16
	v_addc_co_u32_e32 v17, vcc, v17, v11, vcc
	s_movk_i32 s2, 0x1000
	v_add_co_u32_e32 v74, vcc, s2, v48
	v_addc_co_u32_e32 v75, vcc, 0, v49, vcc
	global_load_dwordx4 v[32:35], v[16:17], off
	v_mov_b32_e32 v11, s0
	v_add_co_u32_e32 v16, vcc, s1, v16
	v_addc_co_u32_e32 v17, vcc, v17, v11, vcc
	global_load_dwordx4 v[36:39], v[16:17], off
	global_load_dwordx4 v[144:147], v[66:67], off offset:816
	global_load_dwordx4 v[132:135], v[66:67], off offset:1824
	v_add_co_u32_e32 v16, vcc, s1, v16
	v_addc_co_u32_e32 v17, vcc, v17, v11, vcc
	global_load_dwordx4 v[40:43], v[16:17], off
	global_load_dwordx4 v[128:131], v[46:47], off offset:2704
	v_mov_b32_e32 v11, s6
	v_add_co_u32_e32 v16, vcc, s7, v16
	v_addc_co_u32_e32 v17, vcc, v17, v11, vcc
	global_load_dwordx4 v[50:53], v[16:17], off
	global_load_dwordx4 v[140:143], v[74:75], off offset:944
	global_load_dwordx4 v[124:127], v[74:75], off offset:1952
	v_mov_b32_e32 v11, s0
	v_add_co_u32_e32 v16, vcc, s1, v16
	v_addc_co_u32_e32 v17, vcc, v17, v11, vcc
	global_load_dwordx4 v[54:57], v[16:17], off
	global_load_dwordx4 v[120:123], v[66:67], off offset:2832
	v_add_co_u32_e32 v16, vcc, s1, v16
	v_addc_co_u32_e32 v17, vcc, v17, v11, vcc
	global_load_dwordx4 v[58:61], v[16:17], off
	global_load_dwordx4 v[112:115], v[46:47], off offset:3712
	v_mov_b32_e32 v11, s6
	v_add_co_u32_e32 v16, vcc, s7, v16
	v_addc_co_u32_e32 v17, vcc, v17, v11, vcc
	global_load_dwordx4 v[44:47], v[16:17], off
	global_load_dwordx4 v[108:111], v[74:75], off offset:2960
	v_mov_b32_e32 v11, s0
	v_add_co_u32_e32 v16, vcc, s1, v16
	v_addc_co_u32_e32 v17, vcc, v17, v11, vcc
	global_load_dwordx4 v[62:65], v[16:17], off
	global_load_dwordx4 v[94:97], v[66:67], off offset:3840
	v_add_co_u32_e32 v16, vcc, s1, v16
	v_addc_co_u32_e32 v17, vcc, v17, v11, vcc
	s_movk_i32 s2, 0x6000
	v_add_co_u32_e32 v48, vcc, s2, v48
	v_addc_co_u32_e32 v49, vcc, 0, v49, vcc
	global_load_dwordx4 v[66:69], v[16:17], off
	v_mov_b32_e32 v11, s6
	v_add_co_u32_e32 v16, vcc, s7, v16
	v_addc_co_u32_e32 v17, vcc, v17, v11, vcc
	global_load_dwordx4 v[90:93], v[48:49], off offset:624
	global_load_dwordx4 v[70:73], v[16:17], off
	global_load_dwordx4 v[86:89], v[74:75], off offset:3968
	v_mov_b32_e32 v11, s0
	v_add_co_u32_e32 v16, vcc, s1, v16
	v_addc_co_u32_e32 v17, vcc, v17, v11, vcc
	global_load_dwordx4 v[74:77], v[16:17], off
	v_add_co_u32_e32 v16, vcc, s1, v16
	v_addc_co_u32_e32 v17, vcc, v17, v11, vcc
	global_load_dwordx4 v[78:81], v[16:17], off
	global_load_dwordx4 v[82:85], v[48:49], off offset:1632
	s_nop 0
	buffer_store_dword v100, off, s[36:39], 0 offset:176 ; 4-byte Folded Spill
	s_nop 0
	buffer_store_dword v101, off, s[36:39], 0 offset:180 ; 4-byte Folded Spill
	buffer_store_dword v102, off, s[36:39], 0 offset:184 ; 4-byte Folded Spill
	;; [unrolled: 1-line block ×3, first 2 shown]
	s_movk_i32 s0, 0xbd
	v_add_co_u32_e32 v154, vcc, s0, v153
	s_movk_i32 s0, 0xfc
	s_movk_i32 s6, 0xab
	v_fma_f64 v[16:17], v[26:27], v[100:101], -v[4:5]
	s_waitcnt vmcnt(30)
	v_mul_f64 v[4:5], v[20:21], v[138:139]
	v_mul_f64 v[26:27], v[18:19], v[138:139]
	ds_write_b128 v152, v[0:3] offset:3024
	ds_write_b128 v152, v[7:10] offset:12096
	;; [unrolled: 1-line block ×3, first 2 shown]
	s_waitcnt vmcnt(25)
	v_mul_f64 v[7:8], v[24:25], v[146:147]
	v_mul_f64 v[16:17], v[30:31], v[118:119]
	v_fma_f64 v[0:1], v[18:19], v[136:137], v[4:5]
	buffer_store_dword v136, off, s[36:39], 0 offset:408 ; 4-byte Folded Spill
	s_nop 0
	buffer_store_dword v137, off, s[36:39], 0 offset:412 ; 4-byte Folded Spill
	buffer_store_dword v138, off, s[36:39], 0 offset:416 ; 4-byte Folded Spill
	;; [unrolled: 1-line block ×3, first 2 shown]
	v_mul_f64 v[4:5], v[22:23], v[146:147]
	v_mul_f64 v[18:19], v[28:29], v[118:119]
	v_add_co_u32_e32 v15, vcc, s0, v153
	v_fma_f64 v[7:8], v[22:23], v[144:145], v[7:8]
	buffer_store_dword v144, off, s[36:39], 0 offset:440 ; 4-byte Folded Spill
	s_nop 0
	buffer_store_dword v145, off, s[36:39], 0 offset:444 ; 4-byte Folded Spill
	buffer_store_dword v146, off, s[36:39], 0 offset:448 ; 4-byte Folded Spill
	;; [unrolled: 1-line block ×3, first 2 shown]
	s_waitcnt vmcnt(32)
	v_mul_f64 v[22:23], v[36:37], v[134:135]
	s_movk_i32 s0, 0x13b
	v_add_co_u32_e32 v14, vcc, s0, v153
	s_movk_i32 s0, 0x17a
	v_fma_f64 v[2:3], v[20:21], v[136:137], -v[26:27]
	v_mul_f64 v[20:21], v[38:39], v[134:135]
	s_waitcnt vmcnt(30)
	v_mul_f64 v[26:27], v[40:41], v[130:131]
	v_fma_f64 v[9:10], v[24:25], v[144:145], -v[4:5]
	s_waitcnt vmcnt(28)
	v_mul_f64 v[4:5], v[34:35], v[142:143]
	ds_write_b128 v152, v[0:3] offset:4032
	v_fma_f64 v[0:1], v[28:29], v[116:117], v[16:17]
	buffer_store_dword v116, off, s[36:39], 0 offset:328 ; 4-byte Folded Spill
	s_nop 0
	buffer_store_dword v117, off, s[36:39], 0 offset:332 ; 4-byte Folded Spill
	buffer_store_dword v118, off, s[36:39], 0 offset:336 ; 4-byte Folded Spill
	;; [unrolled: 1-line block ×3, first 2 shown]
	v_mul_f64 v[16:17], v[32:33], v[142:143]
	v_mul_f64 v[24:25], v[42:43], v[130:131]
	ds_write_b128 v152, v[7:10] offset:13104
	v_fma_f64 v[7:8], v[32:33], v[140:141], v[4:5]
	buffer_store_dword v140, off, s[36:39], 0 offset:424 ; 4-byte Folded Spill
	s_nop 0
	buffer_store_dword v141, off, s[36:39], 0 offset:428 ; 4-byte Folded Spill
	buffer_store_dword v142, off, s[36:39], 0 offset:432 ; 4-byte Folded Spill
	;; [unrolled: 1-line block ×3, first 2 shown]
	s_waitcnt vmcnt(35)
	v_mul_f64 v[4:5], v[52:53], v[126:127]
	v_fma_f64 v[2:3], v[30:31], v[116:117], -v[18:19]
	v_fma_f64 v[9:10], v[34:35], v[140:141], -v[16:17]
	v_fma_f64 v[16:17], v[36:37], v[132:133], v[20:21]
	buffer_store_dword v132, off, s[36:39], 0 offset:392 ; 4-byte Folded Spill
	s_nop 0
	buffer_store_dword v133, off, s[36:39], 0 offset:396 ; 4-byte Folded Spill
	buffer_store_dword v134, off, s[36:39], 0 offset:400 ; 4-byte Folded Spill
	;; [unrolled: 1-line block ×3, first 2 shown]
	ds_write_b128 v152, v[0:3] offset:22176
	v_fma_f64 v[0:1], v[40:41], v[128:129], v[24:25]
	buffer_store_dword v128, off, s[36:39], 0 offset:376 ; 4-byte Folded Spill
	s_nop 0
	buffer_store_dword v129, off, s[36:39], 0 offset:380 ; 4-byte Folded Spill
	buffer_store_dword v130, off, s[36:39], 0 offset:384 ; 4-byte Folded Spill
	;; [unrolled: 1-line block ×3, first 2 shown]
	s_waitcnt vmcnt(39)
	v_mul_f64 v[20:21], v[58:59], v[114:115]
	s_waitcnt vmcnt(28)
	v_mul_f64 v[24:25], v[80:81], v[84:85]
	v_fma_f64 v[24:25], v[78:79], v[82:83], v[24:25]
	v_fma_f64 v[18:19], v[38:39], v[132:133], -v[22:23]
	ds_write_b128 v152, v[7:10] offset:5040
	ds_write_b128 v152, v[16:19] offset:14112
	v_fma_f64 v[2:3], v[42:43], v[128:129], -v[26:27]
	v_mul_f64 v[7:8], v[50:51], v[126:127]
	v_mul_f64 v[9:10], v[56:57], v[122:123]
	;; [unrolled: 1-line block ×6, first 2 shown]
	ds_write_b128 v152, v[0:3] offset:23184
	v_fma_f64 v[0:1], v[50:51], v[124:125], v[4:5]
	buffer_store_dword v124, off, s[36:39], 0 offset:360 ; 4-byte Folded Spill
	s_nop 0
	buffer_store_dword v125, off, s[36:39], 0 offset:364 ; 4-byte Folded Spill
	buffer_store_dword v126, off, s[36:39], 0 offset:368 ; 4-byte Folded Spill
	;; [unrolled: 1-line block ×3, first 2 shown]
	v_mul_f64 v[4:5], v[46:47], v[110:111]
	v_fma_f64 v[2:3], v[52:53], v[124:125], -v[7:8]
	v_fma_f64 v[8:9], v[54:55], v[120:121], v[9:10]
	buffer_store_dword v120, off, s[36:39], 0 offset:344 ; 4-byte Folded Spill
	s_nop 0
	buffer_store_dword v121, off, s[36:39], 0 offset:348 ; 4-byte Folded Spill
	buffer_store_dword v122, off, s[36:39], 0 offset:352 ; 4-byte Folded Spill
	;; [unrolled: 1-line block ×3, first 2 shown]
	v_add_co_u32_e32 v7, vcc, s0, v153
	s_movk_i32 s0, 0x1b9
	v_fma_f64 v[10:11], v[56:57], v[120:121], -v[16:17]
	v_fma_f64 v[16:17], v[58:59], v[112:113], v[18:19]
	buffer_store_dword v112, off, s[36:39], 0 offset:312 ; 4-byte Folded Spill
	s_nop 0
	buffer_store_dword v113, off, s[36:39], 0 offset:316 ; 4-byte Folded Spill
	buffer_store_dword v114, off, s[36:39], 0 offset:320 ; 4-byte Folded Spill
	;; [unrolled: 1-line block ×3, first 2 shown]
	ds_write_b128 v152, v[0:3] offset:6048
	v_fma_f64 v[0:1], v[44:45], v[108:109], v[4:5]
	buffer_store_dword v108, off, s[36:39], 0 offset:296 ; 4-byte Folded Spill
	s_nop 0
	buffer_store_dword v109, off, s[36:39], 0 offset:300 ; 4-byte Folded Spill
	buffer_store_dword v110, off, s[36:39], 0 offset:304 ; 4-byte Folded Spill
	;; [unrolled: 1-line block ×3, first 2 shown]
	v_add_co_u32_e32 v5, vcc, s0, v153
	s_movk_i32 s0, 0x1f8
	v_add_co_u32_e32 v4, vcc, s0, v153
	s_mov_b32 s0, 0xe8584caa
	s_mov_b32 s1, 0x3febb67a
	;; [unrolled: 1-line block ×3, first 2 shown]
	v_fma_f64 v[18:19], v[60:61], v[112:113], -v[20:21]
	v_mul_f64 v[20:21], v[64:65], v[96:97]
	ds_write_b128 v152, v[8:11] offset:15120
	ds_write_b128 v152, v[16:19] offset:24192
	v_fma_f64 v[2:3], v[46:47], v[108:109], -v[22:23]
	v_mul_f64 v[22:23], v[62:63], v[96:97]
	v_mul_f64 v[8:9], v[68:69], v[92:93]
	;; [unrolled: 1-line block ×5, first 2 shown]
	ds_write_b128 v152, v[0:3] offset:7056
	v_fma_f64 v[0:1], v[62:63], v[94:95], v[20:21]
	buffer_store_dword v94, off, s[36:39], 0 offset:280 ; 4-byte Folded Spill
	s_nop 0
	buffer_store_dword v95, off, s[36:39], 0 offset:284 ; 4-byte Folded Spill
	buffer_store_dword v96, off, s[36:39], 0 offset:288 ; 4-byte Folded Spill
	buffer_store_dword v97, off, s[36:39], 0 offset:292 ; 4-byte Folded Spill
	v_mul_f64 v[20:21], v[76:77], v[106:107]
	v_fma_f64 v[8:9], v[66:67], v[90:91], v[8:9]
	buffer_store_dword v90, off, s[36:39], 0 offset:264 ; 4-byte Folded Spill
	s_nop 0
	buffer_store_dword v91, off, s[36:39], 0 offset:268 ; 4-byte Folded Spill
	buffer_store_dword v92, off, s[36:39], 0 offset:272 ; 4-byte Folded Spill
	;; [unrolled: 1-line block ×3, first 2 shown]
	v_fma_f64 v[16:17], v[70:71], v[86:87], v[16:17]
	buffer_store_dword v86, off, s[36:39], 0 offset:248 ; 4-byte Folded Spill
	s_nop 0
	buffer_store_dword v87, off, s[36:39], 0 offset:252 ; 4-byte Folded Spill
	buffer_store_dword v88, off, s[36:39], 0 offset:256 ; 4-byte Folded Spill
	;; [unrolled: 1-line block ×3, first 2 shown]
	v_fma_f64 v[20:21], v[74:75], v[104:105], v[20:21]
	v_fma_f64 v[2:3], v[64:65], v[94:95], -v[22:23]
	v_mul_f64 v[22:23], v[74:75], v[106:107]
	buffer_store_dword v104, off, s[36:39], 0 offset:200 ; 4-byte Folded Spill
	s_nop 0
	buffer_store_dword v105, off, s[36:39], 0 offset:204 ; 4-byte Folded Spill
	buffer_store_dword v106, off, s[36:39], 0 offset:208 ; 4-byte Folded Spill
	;; [unrolled: 1-line block ×4, first 2 shown]
	s_nop 0
	buffer_store_dword v83, off, s[36:39], 0 offset:236 ; 4-byte Folded Spill
	buffer_store_dword v84, off, s[36:39], 0 offset:240 ; 4-byte Folded Spill
	;; [unrolled: 1-line block ×3, first 2 shown]
	v_fma_f64 v[10:11], v[68:69], v[90:91], -v[10:11]
	v_fma_f64 v[18:19], v[72:73], v[86:87], -v[18:19]
	ds_write_b128 v152, v[0:3] offset:16128
	ds_write_b128 v152, v[8:11] offset:25200
	v_fma_f64 v[22:23], v[76:77], v[104:105], -v[22:23]
	v_fma_f64 v[26:27], v[80:81], v[82:83], -v[26:27]
	ds_write_b128 v152, v[16:19] offset:8064
	ds_write_b128 v152, v[20:23] offset:17136
	;; [unrolled: 1-line block ×3, first 2 shown]
	s_waitcnt lgkmcnt(0)
	; wave barrier
	s_waitcnt lgkmcnt(0)
	ds_read_b128 v[0:3], v152 offset:9072
	ds_read_b128 v[8:11], v152
	ds_read_b128 v[16:19], v152 offset:1008
	ds_read_b128 v[20:23], v152 offset:18144
	;; [unrolled: 1-line block ×16, first 2 shown]
	s_waitcnt lgkmcnt(14)
	v_add_f64 v[104:105], v[0:1], v[20:21]
	v_add_f64 v[116:117], v[8:9], v[0:1]
	v_add_f64 v[120:121], v[2:3], -v[22:23]
	v_add_f64 v[122:123], v[2:3], v[22:23]
	v_add_f64 v[2:3], v[10:11], v[2:3]
	s_waitcnt lgkmcnt(12)
	v_add_f64 v[124:125], v[28:29], v[24:25]
	v_add_f64 v[126:127], v[30:31], -v[26:27]
	ds_read_b128 v[80:83], v152 offset:14112
	ds_read_b128 v[84:87], v152 offset:15120
	;; [unrolled: 1-line block ×4, first 2 shown]
	v_fma_f64 v[118:119], v[104:105], -0.5, v[8:9]
	v_add_f64 v[8:9], v[116:117], v[20:21]
	v_add_f64 v[20:21], v[0:1], -v[20:21]
	v_fma_f64 v[122:123], v[122:123], -0.5, v[10:11]
	v_add_f64 v[10:11], v[2:3], v[22:23]
	v_add_f64 v[22:23], v[30:31], v[26:27]
	v_fma_f64 v[124:125], v[124:125], -0.5, v[16:17]
	v_add_f64 v[30:31], v[18:19], v[30:31]
	v_fma_f64 v[116:117], v[120:121], s[0:1], v[118:119]
	v_fma_f64 v[0:1], v[120:121], s[2:3], v[118:119]
	v_add_f64 v[120:121], v[16:17], v[28:29]
	v_fma_f64 v[118:119], v[20:21], s[2:3], v[122:123]
	v_fma_f64 v[2:3], v[20:21], s[0:1], v[122:123]
	v_fma_f64 v[122:123], v[22:23], -0.5, v[18:19]
	v_add_f64 v[28:29], v[28:29], -v[24:25]
	v_fma_f64 v[20:21], v[126:127], s[0:1], v[124:125]
	v_add_f64 v[18:19], v[30:31], v[26:27]
	s_waitcnt lgkmcnt(12)
	v_add_f64 v[30:31], v[34:35], v[46:47]
	v_add_f64 v[16:17], v[120:121], v[24:25]
	;; [unrolled: 1-line block ×3, first 2 shown]
	v_fma_f64 v[24:25], v[126:127], s[2:3], v[124:125]
	v_add_f64 v[124:125], v[36:37], v[32:33]
	v_fma_f64 v[22:23], v[28:29], s[2:3], v[122:123]
	v_fma_f64 v[26:27], v[28:29], s[0:1], v[122:123]
	s_waitcnt lgkmcnt(10)
	v_add_f64 v[122:123], v[52:53], v[48:49]
	ds_read_b128 v[96:99], v152 offset:24192
	ds_read_b128 v[100:103], v152 offset:25200
	;; [unrolled: 1-line block ×5, first 2 shown]
	v_fma_f64 v[36:37], v[120:121], -0.5, v[36:37]
	v_add_f64 v[120:121], v[34:35], -v[46:47]
	v_add_f64 v[34:35], v[38:39], v[34:35]
	v_add_f64 v[28:29], v[124:125], v[44:45]
	v_fma_f64 v[38:39], v[30:31], -0.5, v[38:39]
	v_add_f64 v[44:45], v[32:33], -v[44:45]
	v_fma_f64 v[122:123], v[122:123], -0.5, v[40:41]
	v_add_f64 v[124:125], v[54:55], -v[50:51]
	s_waitcnt lgkmcnt(0)
	v_add_f64 v[128:129], v[110:111], -v[114:115]
	v_fma_f64 v[32:33], v[120:121], s[0:1], v[36:37]
	v_fma_f64 v[36:37], v[120:121], s[2:3], v[36:37]
	v_add_f64 v[120:121], v[40:41], v[52:53]
	v_add_f64 v[30:31], v[34:35], v[46:47]
	;; [unrolled: 1-line block ×3, first 2 shown]
	v_fma_f64 v[34:35], v[44:45], s[2:3], v[38:39]
	v_fma_f64 v[38:39], v[44:45], s[0:1], v[38:39]
	v_add_f64 v[54:55], v[42:43], v[54:55]
	v_add_f64 v[52:53], v[52:53], -v[48:49]
	v_fma_f64 v[44:45], v[124:125], s[0:1], v[122:123]
	v_add_f64 v[40:41], v[120:121], v[48:49]
	v_add_f64 v[120:121], v[56:57], v[68:69]
	v_fma_f64 v[126:127], v[46:47], -0.5, v[42:43]
	v_fma_f64 v[48:49], v[124:125], s[2:3], v[122:123]
	v_add_f64 v[122:123], v[60:61], v[56:57]
	v_add_f64 v[42:43], v[54:55], v[50:51]
	;; [unrolled: 1-line block ×3, first 2 shown]
	v_add_f64 v[124:125], v[82:83], -v[74:75]
	v_fma_f64 v[60:61], v[120:121], -0.5, v[60:61]
	v_add_f64 v[120:121], v[58:59], -v[70:71]
	v_fma_f64 v[46:47], v[52:53], s[2:3], v[126:127]
	v_fma_f64 v[50:51], v[52:53], s[0:1], v[126:127]
	v_add_f64 v[58:59], v[62:63], v[58:59]
	v_add_f64 v[52:53], v[122:123], v[68:69]
	;; [unrolled: 1-line block ×3, first 2 shown]
	v_fma_f64 v[62:63], v[54:55], -0.5, v[62:63]
	v_add_f64 v[68:69], v[56:57], -v[68:69]
	v_fma_f64 v[56:57], v[120:121], s[0:1], v[60:61]
	v_fma_f64 v[60:61], v[120:121], s[2:3], v[60:61]
	v_add_f64 v[120:121], v[64:65], v[80:81]
	v_add_f64 v[54:55], v[58:59], v[70:71]
	;; [unrolled: 1-line block ×3, first 2 shown]
	v_fma_f64 v[122:123], v[122:123], -0.5, v[64:65]
	v_add_f64 v[82:83], v[66:67], v[82:83]
	v_fma_f64 v[58:59], v[68:69], s[2:3], v[62:63]
	v_fma_f64 v[62:63], v[68:69], s[0:1], v[62:63]
	v_add_f64 v[80:81], v[80:81], -v[72:73]
	v_add_f64 v[64:65], v[120:121], v[72:73]
	v_add_f64 v[120:121], v[84:85], v[96:97]
	v_fma_f64 v[126:127], v[70:71], -0.5, v[66:67]
	v_fma_f64 v[68:69], v[124:125], s[0:1], v[122:123]
	v_fma_f64 v[72:73], v[124:125], s[2:3], v[122:123]
	v_add_f64 v[122:123], v[88:89], v[84:85]
	v_add_f64 v[124:125], v[104:105], v[100:101]
	;; [unrolled: 1-line block ×4, first 2 shown]
	v_fma_f64 v[88:89], v[120:121], -0.5, v[88:89]
	v_add_f64 v[120:121], v[86:87], -v[98:99]
	v_fma_f64 v[70:71], v[80:81], s[2:3], v[126:127]
	v_fma_f64 v[74:75], v[80:81], s[0:1], v[126:127]
	v_add_f64 v[126:127], v[84:85], -v[96:97]
	v_add_f64 v[80:81], v[122:123], v[96:97]
	v_add_f64 v[96:97], v[92:93], v[104:105]
	v_fma_f64 v[122:123], v[124:125], -0.5, v[92:93]
	v_add_f64 v[124:125], v[106:107], -v[102:103]
	v_add_f64 v[86:87], v[90:91], v[86:87]
	v_fma_f64 v[90:91], v[82:83], -0.5, v[90:91]
	v_fma_f64 v[84:85], v[120:121], s[0:1], v[88:89]
	v_fma_f64 v[88:89], v[120:121], s[2:3], v[88:89]
	; wave barrier
	v_add_f64 v[92:93], v[96:97], v[100:101]
	v_add_f64 v[100:101], v[104:105], -v[100:101]
	v_fma_f64 v[96:97], v[124:125], s[0:1], v[122:123]
	v_fma_f64 v[120:121], v[124:125], s[2:3], v[122:123]
	v_add_f64 v[122:123], v[110:111], v[114:115]
	v_add_f64 v[82:83], v[86:87], v[98:99]
	v_fma_f64 v[86:87], v[126:127], s[2:3], v[90:91]
	v_add_f64 v[98:99], v[106:107], v[102:103]
	v_fma_f64 v[90:91], v[126:127], s[0:1], v[90:91]
	v_add_f64 v[126:127], v[108:109], v[112:113]
	v_add_f64 v[106:107], v[94:95], v[106:107]
	;; [unrolled: 1-line block ×3, first 2 shown]
	v_fma_f64 v[130:131], v[122:123], -0.5, v[78:79]
	v_add_f64 v[108:109], v[108:109], -v[112:113]
	v_add_f64 v[110:111], v[78:79], v[110:111]
	v_fma_f64 v[124:125], v[98:99], -0.5, v[94:95]
	v_fma_f64 v[126:127], v[126:127], -0.5, v[76:77]
	v_add_f64 v[94:95], v[106:107], v[102:103]
	v_add_f64 v[76:77], v[104:105], v[112:113]
	v_fma_f64 v[102:103], v[108:109], s[2:3], v[130:131]
	v_fma_f64 v[106:107], v[108:109], s[0:1], v[130:131]
	v_mul_lo_u16_e32 v108, 3, v153
	v_lshlrev_b32_e32 v108, 4, v108
	ds_write_b128 v108, v[8:11]
	ds_write_b128 v108, v[116:119] offset:16
	ds_write_b128 v108, v[0:3] offset:32
	v_mul_u32_u24_e32 v0, 3, v12
	v_lshlrev_b32_e32 v0, 4, v0
	buffer_store_dword v108, off, s[36:39], 0 offset:1652 ; 4-byte Folded Spill
	ds_write_b128 v0, v[16:19]
	ds_write_b128 v0, v[20:23] offset:16
	buffer_store_dword v0, off, s[36:39], 0 offset:1648 ; 4-byte Folded Spill
	ds_write_b128 v0, v[24:27] offset:32
	v_mul_u32_u24_e32 v0, 3, v6
	v_lshlrev_b32_e32 v0, 4, v0
	ds_write_b128 v0, v[28:31]
	ds_write_b128 v0, v[32:35] offset:16
	buffer_store_dword v0, off, s[36:39], 0 offset:1644 ; 4-byte Folded Spill
	ds_write_b128 v0, v[36:39] offset:32
	v_mul_u32_u24_e32 v0, 3, v154
	v_lshlrev_b32_e32 v0, 4, v0
	v_fma_f64 v[122:123], v[100:101], s[0:1], v[124:125]
	ds_write_b128 v0, v[40:43]
	ds_write_b128 v0, v[44:47] offset:16
	buffer_store_dword v0, off, s[36:39], 0 offset:1640 ; 4-byte Folded Spill
	ds_write_b128 v0, v[48:51] offset:32
	v_mul_u32_u24_e32 v0, 3, v15
	v_fma_f64 v[98:99], v[100:101], s[2:3], v[124:125]
	v_lshlrev_b32_e32 v0, 4, v0
	v_fma_f64 v[104:105], v[128:129], s[2:3], v[126:127]
	v_add_f64 v[78:79], v[110:111], v[114:115]
	ds_write_b128 v0, v[52:55]
	ds_write_b128 v0, v[56:59] offset:16
	buffer_store_dword v0, off, s[36:39], 0 offset:1636 ; 4-byte Folded Spill
	ds_write_b128 v0, v[60:63] offset:32
	v_mul_u32_u24_e32 v0, 3, v14
	v_fma_f64 v[100:101], v[128:129], s[0:1], v[126:127]
	v_lshlrev_b32_e32 v0, 4, v0
	ds_write_b128 v0, v[64:67]
	ds_write_b128 v0, v[68:71] offset:16
	buffer_store_dword v0, off, s[36:39], 0 offset:1628 ; 4-byte Folded Spill
	ds_write_b128 v0, v[72:75] offset:32
	v_mul_u32_u24_e32 v0, 3, v7
	v_lshlrev_b32_e32 v0, 4, v0
	ds_write_b128 v0, v[80:83]
	ds_write_b128 v0, v[84:87] offset:16
	buffer_store_dword v0, off, s[36:39], 0 offset:1624 ; 4-byte Folded Spill
	ds_write_b128 v0, v[88:91] offset:32
	v_mul_u32_u24_e32 v0, 3, v5
	;; [unrolled: 6-line block ×3, first 2 shown]
	v_lshlrev_b32_e32 v0, 4, v0
	ds_write_b128 v0, v[76:79]
	ds_write_b128 v0, v[100:103] offset:16
	buffer_store_dword v0, off, s[36:39], 0 offset:1612 ; 4-byte Folded Spill
	ds_write_b128 v0, v[104:107] offset:32
	v_mul_lo_u16_sdwa v0, v153, s6 dst_sel:DWORD dst_unused:UNUSED_PAD src0_sel:BYTE_0 src1_sel:DWORD
	v_lshrrev_b16_e32 v0, 9, v0
	v_mul_lo_u16_e32 v1, 3, v0
	v_sub_u16_e32 v1, v153, v1
	v_and_b32_e32 v1, 0xff, v1
	v_lshlrev_b32_e32 v2, 5, v1
	s_waitcnt lgkmcnt(0)
	; wave barrier
	s_waitcnt lgkmcnt(0)
	global_load_dwordx4 v[136:139], v2, s[14:15] offset:16
	global_load_dwordx4 v[144:147], v2, s[14:15]
	v_mul_lo_u16_sdwa v2, v12, s6 dst_sel:DWORD dst_unused:UNUSED_PAD src0_sel:BYTE_0 src1_sel:DWORD
	v_lshrrev_b16_e32 v2, 9, v2
	v_mul_lo_u16_e32 v3, 3, v2
	v_sub_u16_e32 v3, v12, v3
	v_and_b32_e32 v3, 0xff, v3
	v_lshlrev_b32_e32 v8, 5, v3
	global_load_dwordx4 v[148:151], v8, s[14:15] offset:16
	global_load_dwordx4 v[156:159], v8, s[14:15]
	v_mul_lo_u16_sdwa v8, v6, s6 dst_sel:DWORD dst_unused:UNUSED_PAD src0_sel:BYTE_0 src1_sel:DWORD
	v_lshrrev_b16_e32 v8, 9, v8
	v_mul_lo_u16_e32 v9, 3, v8
	v_sub_u16_e32 v9, v6, v9
	v_and_b32_e32 v9, 0xff, v9
	v_lshlrev_b32_e32 v10, 5, v9
	;; [unrolled: 8-line block ×3, first 2 shown]
	global_load_dwordx4 v[176:179], v16, s[14:15] offset:16
	global_load_dwordx4 v[184:187], v16, s[14:15]
	s_mov_b32 s6, 0xaaab
	v_mul_u32_u24_sdwa v16, v15, s6 dst_sel:DWORD dst_unused:UNUSED_PAD src0_sel:WORD_0 src1_sel:DWORD
	v_lshrrev_b32_e32 v16, 17, v16
	v_mul_lo_u16_e32 v17, 3, v16
	v_sub_u16_e32 v17, v15, v17
	v_lshlrev_b16_e32 v18, 1, v17
	v_lshlrev_b32_e32 v18, 4, v18
	global_load_dwordx4 v[200:203], v18, s[14:15]
	global_load_dwordx4 v[192:195], v18, s[14:15] offset:16
	v_mul_u32_u24_sdwa v18, v14, s6 dst_sel:DWORD dst_unused:UNUSED_PAD src0_sel:WORD_0 src1_sel:DWORD
	v_lshrrev_b32_e32 v18, 17, v18
	v_mul_lo_u16_e32 v19, 3, v18
	v_sub_u16_e32 v19, v14, v19
	v_lshlrev_b16_e32 v20, 1, v19
	v_lshlrev_b32_e32 v20, 4, v20
	global_load_dwordx4 v[208:211], v20, s[14:15]
	global_load_dwordx4 v[204:207], v20, s[14:15] offset:16
	ds_read_b128 v[20:23], v152 offset:9072
	ds_read_b128 v[24:27], v152 offset:18144
	;; [unrolled: 1-line block ×12, first 2 shown]
	v_mul_u32_u24_e32 v0, 9, v0
	v_add_lshl_u32 v0, v0, v1, 4
	s_waitcnt vmcnt(11) lgkmcnt(10)
	v_mul_f64 v[72:73], v[26:27], v[138:139]
	s_waitcnt vmcnt(10)
	v_mul_f64 v[68:69], v[22:23], v[146:147]
	v_mul_f64 v[70:71], v[20:21], v[146:147]
	;; [unrolled: 1-line block ×3, first 2 shown]
	v_fma_f64 v[72:73], v[24:25], v[136:137], -v[72:73]
	v_fma_f64 v[68:69], v[20:21], v[144:145], -v[68:69]
	s_waitcnt vmcnt(8) lgkmcnt(8)
	v_mul_f64 v[20:21], v[34:35], v[158:159]
	v_fma_f64 v[70:71], v[22:23], v[144:145], v[70:71]
	v_mul_f64 v[22:23], v[32:33], v[158:159]
	v_mul_f64 v[24:25], v[30:31], v[150:151]
	v_fma_f64 v[74:75], v[26:27], v[136:137], v[74:75]
	v_mul_f64 v[26:27], v[28:29], v[150:151]
	s_waitcnt vmcnt(6) lgkmcnt(7)
	v_mul_f64 v[76:77], v[38:39], v[174:175]
	v_fma_f64 v[78:79], v[32:33], v[156:157], -v[20:21]
	v_mul_f64 v[20:21], v[36:37], v[174:175]
	v_fma_f64 v[80:81], v[34:35], v[156:157], v[22:23]
	s_waitcnt lgkmcnt(6)
	v_mul_f64 v[22:23], v[42:43], v[166:167]
	v_fma_f64 v[82:83], v[28:29], v[148:149], -v[24:25]
	s_waitcnt vmcnt(4) lgkmcnt(3)
	v_mul_f64 v[24:25], v[54:55], v[186:187]
	v_fma_f64 v[84:85], v[30:31], v[148:149], v[26:27]
	v_mul_f64 v[26:27], v[44:45], v[178:179]
	v_fma_f64 v[76:77], v[36:37], v[172:173], -v[76:77]
	v_fma_f64 v[86:87], v[38:39], v[172:173], v[20:21]
	v_mul_f64 v[20:21], v[52:53], v[186:187]
	v_fma_f64 v[88:89], v[40:41], v[164:165], -v[22:23]
	v_mul_f64 v[22:23], v[46:47], v[178:179]
	s_waitcnt vmcnt(3) lgkmcnt(2)
	v_mul_f64 v[28:29], v[58:59], v[202:203]
	v_fma_f64 v[92:93], v[52:53], v[184:185], -v[24:25]
	v_mul_f64 v[24:25], v[56:57], v[202:203]
	s_waitcnt vmcnt(2) lgkmcnt(1)
	v_mul_f64 v[30:31], v[62:63], v[194:195]
	v_fma_f64 v[46:47], v[46:47], v[176:177], v[26:27]
	v_fma_f64 v[94:95], v[54:55], v[184:185], v[20:21]
	v_mul_f64 v[32:33], v[40:41], v[166:167]
	v_fma_f64 v[96:97], v[44:45], v[176:177], -v[22:23]
	ds_read_b128 v[20:23], v152 offset:14112
	v_fma_f64 v[98:99], v[56:57], v[200:201], -v[28:29]
	v_fma_f64 v[100:101], v[58:59], v[200:201], v[24:25]
	ds_read_b128 v[24:27], v152 offset:15120
	v_fma_f64 v[102:103], v[60:61], v[192:193], -v[30:31]
	s_waitcnt vmcnt(1) lgkmcnt(1)
	v_mul_f64 v[28:29], v[22:23], v[210:211]
	v_mul_f64 v[30:31], v[20:21], v[210:211]
	v_fma_f64 v[90:91], v[42:43], v[164:165], v[32:33]
	v_mul_f64 v[32:33], v[60:61], v[194:195]
	v_add_f64 v[38:39], v[68:69], -v[72:73]
	v_add_f64 v[42:43], v[80:81], -v[84:85]
	v_add_f64 v[52:53], v[78:79], -v[82:83]
	v_add_f64 v[60:61], v[76:77], v[88:89]
	v_fma_f64 v[106:107], v[20:21], v[208:209], -v[28:29]
	s_waitcnt vmcnt(0)
	v_mul_f64 v[20:21], v[66:67], v[206:207]
	v_fma_f64 v[108:109], v[22:23], v[208:209], v[30:31]
	v_mul_f64 v[22:23], v[64:65], v[206:207]
	v_fma_f64 v[104:105], v[62:63], v[192:193], v[32:33]
	v_fma_f64 v[110:111], v[64:65], v[204:205], -v[20:21]
	v_mul_u32_u24_sdwa v20, v7, s6 dst_sel:DWORD dst_unused:UNUSED_PAD src0_sel:WORD_0 src1_sel:DWORD
	v_lshrrev_b32_e32 v20, 17, v20
	v_mul_lo_u16_e32 v21, 3, v20
	v_sub_u16_e32 v21, v7, v21
	v_fma_f64 v[112:113], v[66:67], v[204:205], v[22:23]
	v_lshlrev_b16_e32 v22, 1, v21
	v_lshlrev_b32_e32 v28, 4, v22
	global_load_dwordx4 v[212:215], v28, s[14:15]
	global_load_dwordx4 v[216:219], v28, s[14:15] offset:16
	v_add_f64 v[64:65], v[86:87], -v[90:91]
	s_waitcnt vmcnt(1) lgkmcnt(0)
	v_mul_f64 v[22:23], v[26:27], v[214:215]
	v_fma_f64 v[114:115], v[24:25], v[212:213], -v[22:23]
	v_mul_f64 v[22:23], v[24:25], v[214:215]
	v_fma_f64 v[116:117], v[26:27], v[212:213], v[22:23]
	ds_read_b128 v[22:25], v152 offset:24192
	ds_read_b128 v[26:29], v152 offset:25200
	s_waitcnt vmcnt(0) lgkmcnt(1)
	v_mul_f64 v[30:31], v[24:25], v[218:219]
	v_fma_f64 v[118:119], v[22:23], v[216:217], -v[30:31]
	v_mul_f64 v[22:23], v[22:23], v[218:219]
	v_fma_f64 v[120:121], v[24:25], v[216:217], v[22:23]
	v_mul_u32_u24_sdwa v22, v5, s6 dst_sel:DWORD dst_unused:UNUSED_PAD src0_sel:WORD_0 src1_sel:DWORD
	v_lshrrev_b32_e32 v160, 17, v22
	v_mul_lo_u16_e32 v22, 3, v160
	v_sub_u16_e32 v161, v5, v22
	v_lshlrev_b16_e32 v22, 1, v161
	v_lshlrev_b32_e32 v36, 4, v22
	global_load_dwordx4 v[220:223], v36, s[14:15]
	ds_read_b128 v[22:25], v152 offset:16128
	ds_read_b128 v[30:33], v152 offset:17136
	global_load_dwordx4 v[224:227], v36, s[14:15] offset:16
	s_waitcnt vmcnt(1) lgkmcnt(1)
	v_mul_f64 v[34:35], v[24:25], v[222:223]
	v_fma_f64 v[122:123], v[22:23], v[220:221], -v[34:35]
	v_mul_f64 v[22:23], v[22:23], v[222:223]
	v_add_f64 v[34:35], v[70:71], -v[74:75]
	v_fma_f64 v[124:125], v[24:25], v[220:221], v[22:23]
	s_waitcnt vmcnt(0)
	v_mul_f64 v[22:23], v[28:29], v[226:227]
	v_fma_f64 v[126:127], v[26:27], v[224:225], -v[22:23]
	v_mul_f64 v[22:23], v[26:27], v[226:227]
	v_fma_f64 v[128:129], v[28:29], v[224:225], v[22:23]
	v_mul_u32_u24_sdwa v22, v4, s6 dst_sel:DWORD dst_unused:UNUSED_PAD src0_sel:WORD_0 src1_sel:DWORD
	v_lshrrev_b32_e32 v162, 17, v22
	v_mul_lo_u16_e32 v22, 3, v162
	v_sub_u16_e32 v163, v4, v22
	v_lshlrev_b16_e32 v22, 1, v163
	v_lshlrev_b32_e32 v24, 4, v22
	global_load_dwordx4 v[228:231], v24, s[14:15]
	global_load_dwordx4 v[232:235], v24, s[14:15] offset:16
	s_mov_b32 s6, 0xe38f
	s_waitcnt vmcnt(1) lgkmcnt(0)
	v_mul_f64 v[22:23], v[32:33], v[230:231]
	v_fma_f64 v[130:131], v[30:31], v[228:229], -v[22:23]
	v_mul_f64 v[22:23], v[30:31], v[230:231]
	v_add_f64 v[30:31], v[68:69], v[72:73]
	v_fma_f64 v[132:133], v[32:33], v[228:229], v[22:23]
	ds_read_b128 v[22:25], v152 offset:26208
	s_waitcnt vmcnt(0) lgkmcnt(0)
	v_mul_f64 v[26:27], v[24:25], v[234:235]
	v_fma_f64 v[134:135], v[22:23], v[232:233], -v[26:27]
	v_mul_f64 v[22:23], v[22:23], v[234:235]
	v_fma_f64 v[140:141], v[24:25], v[232:233], v[22:23]
	ds_read_b128 v[22:25], v152
	ds_read_b128 v[26:29], v152 offset:1008
	s_waitcnt lgkmcnt(1)
	v_fma_f64 v[32:33], v[30:31], -0.5, v[22:23]
	v_add_f64 v[30:31], v[70:71], v[74:75]
	v_add_f64 v[22:23], v[22:23], v[68:69]
	v_add_f64 v[68:69], v[76:77], -v[88:89]
	v_fma_f64 v[36:37], v[30:31], -0.5, v[24:25]
	v_fma_f64 v[30:31], v[34:35], s[0:1], v[32:33]
	v_fma_f64 v[34:35], v[34:35], s[2:3], v[32:33]
	v_add_f64 v[24:25], v[24:25], v[70:71]
	v_add_f64 v[22:23], v[22:23], v[72:73]
	v_add_f64 v[72:73], v[94:95], -v[46:47]
	v_fma_f64 v[32:33], v[38:39], s[2:3], v[36:37]
	v_fma_f64 v[36:37], v[38:39], s[0:1], v[36:37]
	v_add_f64 v[38:39], v[78:79], v[82:83]
	v_add_f64 v[24:25], v[24:25], v[74:75]
	s_waitcnt lgkmcnt(0)
	v_fma_f64 v[40:41], v[38:39], -0.5, v[26:27]
	v_add_f64 v[38:39], v[80:81], v[84:85]
	v_add_f64 v[26:27], v[26:27], v[78:79]
	v_fma_f64 v[44:45], v[38:39], -0.5, v[28:29]
	v_fma_f64 v[38:39], v[42:43], s[0:1], v[40:41]
	v_fma_f64 v[42:43], v[42:43], s[2:3], v[40:41]
	v_add_f64 v[28:29], v[28:29], v[80:81]
	v_add_f64 v[26:27], v[26:27], v[82:83]
	v_fma_f64 v[40:41], v[52:53], s[2:3], v[44:45]
	v_fma_f64 v[44:45], v[52:53], s[0:1], v[44:45]
	ds_read_b128 v[52:55], v152 offset:2016
	ds_read_b128 v[56:59], v152 offset:3024
	v_add_f64 v[28:29], v[28:29], v[84:85]
	v_add_f64 v[84:85], v[100:101], v[104:105]
	s_waitcnt lgkmcnt(1)
	v_fma_f64 v[62:63], v[60:61], -0.5, v[52:53]
	v_add_f64 v[60:61], v[86:87], v[90:91]
	v_add_f64 v[52:53], v[52:53], v[76:77]
	ds_read_b128 v[76:79], v152 offset:4032
	ds_read_b128 v[80:83], v152 offset:5040
	v_fma_f64 v[66:67], v[60:61], -0.5, v[54:55]
	v_fma_f64 v[60:61], v[64:65], s[0:1], v[62:63]
	v_fma_f64 v[64:65], v[64:65], s[2:3], v[62:63]
	v_add_f64 v[54:55], v[54:55], v[86:87]
	v_add_f64 v[86:87], v[100:101], -v[104:105]
	v_add_f64 v[52:53], v[52:53], v[88:89]
	v_fma_f64 v[62:63], v[68:69], s[2:3], v[66:67]
	v_fma_f64 v[66:67], v[68:69], s[0:1], v[66:67]
	v_add_f64 v[68:69], v[92:93], v[96:97]
	v_add_f64 v[54:55], v[54:55], v[90:91]
	s_waitcnt lgkmcnt(1)
	v_fma_f64 v[90:91], v[84:85], -0.5, v[78:79]
	v_add_f64 v[78:79], v[78:79], v[100:101]
	v_add_f64 v[100:101], v[106:107], -v[110:111]
	v_fma_f64 v[70:71], v[68:69], -0.5, v[56:57]
	v_add_f64 v[68:69], v[94:95], v[46:47]
	v_add_f64 v[56:57], v[56:57], v[92:93]
	;; [unrolled: 1-line block ×3, first 2 shown]
	v_fma_f64 v[74:75], v[68:69], -0.5, v[58:59]
	v_add_f64 v[58:59], v[58:59], v[94:95]
	v_fma_f64 v[68:69], v[72:73], s[0:1], v[70:71]
	v_fma_f64 v[72:73], v[72:73], s[2:3], v[70:71]
	v_add_f64 v[94:95], v[108:109], -v[112:113]
	v_add_f64 v[56:57], v[56:57], v[96:97]
	v_add_f64 v[58:59], v[58:59], v[46:47]
	v_add_f64 v[46:47], v[92:93], -v[96:97]
	v_add_f64 v[92:93], v[98:99], -v[102:103]
	v_fma_f64 v[70:71], v[46:47], s[2:3], v[74:75]
	v_fma_f64 v[74:75], v[46:47], s[0:1], v[74:75]
	v_add_f64 v[46:47], v[98:99], v[102:103]
	v_fma_f64 v[46:47], v[46:47], -0.5, v[76:77]
	v_add_f64 v[76:77], v[76:77], v[98:99]
	v_fma_f64 v[84:85], v[86:87], s[0:1], v[46:47]
	v_fma_f64 v[88:89], v[86:87], s[2:3], v[46:47]
	v_add_f64 v[46:47], v[106:107], v[110:111]
	v_fma_f64 v[86:87], v[92:93], s[2:3], v[90:91]
	v_fma_f64 v[90:91], v[92:93], s[0:1], v[90:91]
	v_add_f64 v[92:93], v[108:109], v[112:113]
	v_add_f64 v[76:77], v[76:77], v[102:103]
	s_waitcnt lgkmcnt(0)
	v_fma_f64 v[46:47], v[46:47], -0.5, v[80:81]
	v_add_f64 v[80:81], v[80:81], v[106:107]
	v_fma_f64 v[98:99], v[92:93], -0.5, v[82:83]
	v_add_f64 v[82:83], v[82:83], v[108:109]
	v_add_f64 v[108:109], v[116:117], v[120:121]
	v_fma_f64 v[92:93], v[94:95], s[0:1], v[46:47]
	v_fma_f64 v[96:97], v[94:95], s[2:3], v[46:47]
	v_add_f64 v[46:47], v[114:115], v[118:119]
	v_fma_f64 v[94:95], v[100:101], s[2:3], v[98:99]
	v_fma_f64 v[98:99], v[100:101], s[0:1], v[98:99]
	ds_read_b128 v[100:103], v152 offset:6048
	ds_read_b128 v[104:107], v152 offset:7056
	v_add_f64 v[80:81], v[80:81], v[110:111]
	v_add_f64 v[110:111], v[116:117], -v[120:121]
	v_add_f64 v[82:83], v[82:83], v[112:113]
	s_waitcnt lgkmcnt(1)
	v_fma_f64 v[142:143], v[108:109], -0.5, v[102:103]
	v_fma_f64 v[46:47], v[46:47], -0.5, v[100:101]
	v_add_f64 v[100:101], v[100:101], v[114:115]
	v_add_f64 v[102:103], v[102:103], v[116:117]
	v_add_f64 v[114:115], v[114:115], -v[118:119]
	v_add_f64 v[116:117], v[124:125], v[128:129]
	s_waitcnt lgkmcnt(0)
	; wave barrier
	s_waitcnt lgkmcnt(0)
	ds_write_b128 v0, v[22:25]
	ds_write_b128 v0, v[30:33] offset:48
	v_fma_f64 v[108:109], v[110:111], s[0:1], v[46:47]
	v_fma_f64 v[112:113], v[110:111], s[2:3], v[46:47]
	v_add_f64 v[46:47], v[122:123], v[126:127]
	v_add_f64 v[100:101], v[100:101], v[118:119]
	v_add_f64 v[118:119], v[124:125], -v[128:129]
	v_add_f64 v[102:103], v[102:103], v[120:121]
	v_fma_f64 v[110:111], v[114:115], s[2:3], v[142:143]
	v_fma_f64 v[114:115], v[114:115], s[0:1], v[142:143]
	v_fma_f64 v[142:143], v[116:117], -0.5, v[106:107]
	v_add_f64 v[106:107], v[106:107], v[124:125]
	v_fma_f64 v[46:47], v[46:47], -0.5, v[104:105]
	v_add_f64 v[104:105], v[104:105], v[122:123]
	v_add_f64 v[122:123], v[122:123], -v[126:127]
	buffer_store_dword v0, off, s[36:39], 0 offset:1632 ; 4-byte Folded Spill
	ds_write_b128 v0, v[34:37] offset:96
	v_mul_u32_u24_e32 v0, 9, v2
	v_add_lshl_u32 v0, v0, v3, 4
	v_add_f64 v[106:107], v[106:107], v[128:129]
	v_fma_f64 v[116:117], v[118:119], s[0:1], v[46:47]
	v_fma_f64 v[120:121], v[118:119], s[2:3], v[46:47]
	v_add_f64 v[46:47], v[130:131], v[134:135]
	v_add_f64 v[104:105], v[104:105], v[126:127]
	v_fma_f64 v[118:119], v[122:123], s[2:3], v[142:143]
	v_fma_f64 v[122:123], v[122:123], s[0:1], v[142:143]
	v_add_f64 v[128:129], v[132:133], -v[140:141]
	ds_write_b128 v0, v[26:29]
	ds_write_b128 v0, v[38:41] offset:48
	buffer_store_dword v0, off, s[36:39], 0 offset:1616 ; 4-byte Folded Spill
	ds_write_b128 v0, v[42:45] offset:96
	v_fma_f64 v[126:127], v[46:47], -0.5, v[48:49]
	v_add_f64 v[46:47], v[132:133], v[140:141]
	v_mul_u32_u24_e32 v0, 9, v8
	v_add_lshl_u32 v0, v0, v9, 4
	ds_write_b128 v0, v[52:55]
	ds_write_b128 v0, v[60:63] offset:48
	buffer_store_dword v0, off, s[36:39], 0 offset:1608 ; 4-byte Folded Spill
	ds_write_b128 v0, v[64:67] offset:96
	v_mul_u32_u24_e32 v0, 9, v10
	v_add_lshl_u32 v0, v0, v11, 4
	v_fma_f64 v[142:143], v[46:47], -0.5, v[50:51]
	v_add_f64 v[46:47], v[50:51], v[132:133]
	v_add_f64 v[50:51], v[48:49], v[130:131]
	ds_write_b128 v0, v[56:59]
	ds_write_b128 v0, v[68:71] offset:48
	buffer_store_dword v0, off, s[36:39], 0 offset:1604 ; 4-byte Folded Spill
	ds_write_b128 v0, v[72:75] offset:96
	v_mad_legacy_u16 v0, v16, 9, v17
	v_lshlrev_b32_e32 v0, 4, v0
	v_fma_f64 v[124:125], v[128:129], s[0:1], v[126:127]
	v_add_f64 v[48:49], v[46:47], v[140:141]
	v_add_f64 v[46:47], v[50:51], v[134:135]
	v_add_f64 v[50:51], v[130:131], -v[134:135]
	v_fma_f64 v[128:129], v[128:129], s[2:3], v[126:127]
	ds_write_b128 v0, v[76:79]
	ds_write_b128 v0, v[84:87] offset:48
	buffer_store_dword v0, off, s[36:39], 0 offset:1584 ; 4-byte Folded Spill
	ds_write_b128 v0, v[88:91] offset:96
	v_mad_legacy_u16 v0, v18, 9, v19
	v_lshlrev_b32_e32 v0, 4, v0
	ds_write_b128 v0, v[80:83]
	ds_write_b128 v0, v[92:95] offset:48
	v_fma_f64 v[130:131], v[50:51], s[0:1], v[142:143]
	v_fma_f64 v[126:127], v[50:51], s[2:3], v[142:143]
	buffer_store_dword v0, off, s[36:39], 0 offset:1548 ; 4-byte Folded Spill
	ds_write_b128 v0, v[96:99] offset:96
	v_mad_legacy_u16 v0, v20, 9, v21
	v_lshlrev_b32_e32 v0, 4, v0
	ds_write_b128 v0, v[100:103]
	ds_write_b128 v0, v[108:111] offset:48
	buffer_store_dword v0, off, s[36:39], 0 offset:1512 ; 4-byte Folded Spill
	ds_write_b128 v0, v[112:115] offset:96
	v_mad_legacy_u16 v0, v160, 9, v161
	v_lshlrev_b32_e32 v0, 4, v0
	ds_write_b128 v0, v[104:107]
	ds_write_b128 v0, v[116:119] offset:48
	buffer_store_dword v0, off, s[36:39], 0 offset:1472 ; 4-byte Folded Spill
	ds_write_b128 v0, v[120:123] offset:96
	v_mad_legacy_u16 v0, v162, 9, v163
	v_lshlrev_b32_e32 v0, 4, v0
	v_mov_b32_e32 v32, 57
	ds_write_b128 v0, v[46:49]
	ds_write_b128 v0, v[124:127] offset:48
	buffer_store_dword v0, off, s[36:39], 0 offset:1464 ; 4-byte Folded Spill
	ds_write_b128 v0, v[128:131] offset:96
	v_mul_lo_u16_sdwa v0, v153, v32 dst_sel:DWORD dst_unused:UNUSED_PAD src0_sel:BYTE_0 src1_sel:DWORD
	v_lshrrev_b16_e32 v8, 9, v0
	v_mul_lo_u16_e32 v0, 9, v8
	v_sub_u16_e32 v0, v153, v0
	v_and_b32_e32 v9, 0xff, v0
	v_lshlrev_b32_e32 v0, 5, v9
	s_waitcnt lgkmcnt(0)
	; wave barrier
	s_waitcnt lgkmcnt(0)
	global_load_dwordx4 v[38:41], v0, s[14:15] offset:96
	global_load_dwordx4 v[34:37], v0, s[14:15] offset:112
	v_mul_lo_u16_sdwa v0, v12, v32 dst_sel:DWORD dst_unused:UNUSED_PAD src0_sel:BYTE_0 src1_sel:DWORD
	v_lshrrev_b16_e32 v10, 9, v0
	v_mul_lo_u16_e32 v0, 9, v10
	v_sub_u16_e32 v0, v12, v0
	v_and_b32_e32 v11, 0xff, v0
	v_lshlrev_b32_e32 v33, 5, v11
	global_load_dwordx4 v[53:56], v33, s[14:15] offset:96
	ds_read_b128 v[16:19], v152 offset:9072
	ds_read_b128 v[0:3], v152 offset:8064
	;; [unrolled: 1-line block ×4, first 2 shown]
	v_mul_lo_u16_e32 v8, 27, v8
	v_and_b32_e32 v8, 0xff, v8
	v_add_lshl_u32 v8, v8, v9, 4
	s_waitcnt vmcnt(2) lgkmcnt(3)
	v_mul_f64 v[28:29], v[18:19], v[40:41]
	v_mul_f64 v[30:31], v[16:17], v[40:41]
	v_fma_f64 v[43:44], v[16:17], v[38:39], -v[28:29]
	buffer_store_dword v38, off, s[36:39], 0 offset:1432 ; 4-byte Folded Spill
	s_nop 0
	buffer_store_dword v39, off, s[36:39], 0 offset:1436 ; 4-byte Folded Spill
	buffer_store_dword v40, off, s[36:39], 0 offset:1440 ; 4-byte Folded Spill
	;; [unrolled: 1-line block ×3, first 2 shown]
	s_waitcnt vmcnt(5) lgkmcnt(1)
	v_mul_f64 v[16:17], v[22:23], v[36:37]
	v_fma_f64 v[47:48], v[20:21], v[34:35], -v[16:17]
	v_fma_f64 v[45:46], v[18:19], v[38:39], v[30:31]
	v_mul_f64 v[18:19], v[20:21], v[36:37]
	buffer_store_dword v34, off, s[36:39], 0 offset:1416 ; 4-byte Folded Spill
	s_nop 0
	buffer_store_dword v35, off, s[36:39], 0 offset:1420 ; 4-byte Folded Spill
	buffer_store_dword v36, off, s[36:39], 0 offset:1424 ; 4-byte Folded Spill
	;; [unrolled: 1-line block ×3, first 2 shown]
	v_fma_f64 v[49:50], v[22:23], v[34:35], v[18:19]
	ds_read_b128 v[16:19], v152 offset:10080
	ds_read_b128 v[20:23], v152 offset:11088
	s_waitcnt vmcnt(8) lgkmcnt(1)
	v_mul_f64 v[28:29], v[18:19], v[55:56]
	v_fma_f64 v[51:52], v[16:17], v[53:54], -v[28:29]
	v_mul_f64 v[16:17], v[16:17], v[55:56]
	buffer_store_dword v53, off, s[36:39], 0 offset:1448 ; 4-byte Folded Spill
	s_nop 0
	buffer_store_dword v54, off, s[36:39], 0 offset:1452 ; 4-byte Folded Spill
	buffer_store_dword v55, off, s[36:39], 0 offset:1456 ; 4-byte Folded Spill
	;; [unrolled: 1-line block ×3, first 2 shown]
	global_load_dwordx4 v[28:31], v33, s[14:15] offset:112
	v_fma_f64 v[53:54], v[18:19], v[53:54], v[16:17]
	s_waitcnt vmcnt(0)
	v_mul_f64 v[16:17], v[26:27], v[30:31]
	v_fma_f64 v[55:56], v[24:25], v[28:29], -v[16:17]
	v_mul_f64 v[16:17], v[24:25], v[30:31]
	buffer_store_dword v28, off, s[36:39], 0 offset:1480 ; 4-byte Folded Spill
	s_nop 0
	buffer_store_dword v29, off, s[36:39], 0 offset:1484 ; 4-byte Folded Spill
	buffer_store_dword v30, off, s[36:39], 0 offset:1488 ; 4-byte Folded Spill
	;; [unrolled: 1-line block ×3, first 2 shown]
	v_fma_f64 v[57:58], v[26:27], v[28:29], v[16:17]
	v_mul_lo_u16_sdwa v16, v6, v32 dst_sel:DWORD dst_unused:UNUSED_PAD src0_sel:BYTE_0 src1_sel:DWORD
	v_lshrrev_b16_e32 v17, 9, v16
	v_mul_lo_u16_e32 v16, 9, v17
	v_sub_u16_e32 v16, v6, v16
	v_and_b32_e32 v18, 0xff, v16
	v_lshlrev_b32_e32 v16, 5, v18
	global_load_dwordx4 v[26:29], v16, s[14:15] offset:96
	s_waitcnt vmcnt(0) lgkmcnt(0)
	v_mul_f64 v[24:25], v[22:23], v[28:29]
	v_fma_f64 v[61:62], v[20:21], v[26:27], -v[24:25]
	v_mul_f64 v[19:20], v[20:21], v[28:29]
	buffer_store_dword v26, off, s[36:39], 0 offset:1496 ; 4-byte Folded Spill
	s_nop 0
	buffer_store_dword v27, off, s[36:39], 0 offset:1500 ; 4-byte Folded Spill
	buffer_store_dword v28, off, s[36:39], 0 offset:1504 ; 4-byte Folded Spill
	;; [unrolled: 1-line block ×3, first 2 shown]
	global_load_dwordx4 v[33:36], v16, s[14:15] offset:112
	v_mul_lo_u16_sdwa v16, v154, v32 dst_sel:DWORD dst_unused:UNUSED_PAD src0_sel:BYTE_0 src1_sel:DWORD
	v_fma_f64 v[63:64], v[22:23], v[26:27], v[19:20]
	ds_read_b128 v[19:22], v152 offset:20160
	ds_read_b128 v[23:26], v152 offset:21168
	s_waitcnt vmcnt(0) lgkmcnt(1)
	v_mul_f64 v[27:28], v[21:22], v[35:36]
	v_fma_f64 v[65:66], v[19:20], v[33:34], -v[27:28]
	v_mul_f64 v[19:20], v[19:20], v[35:36]
	buffer_store_dword v33, off, s[36:39], 0 offset:1516 ; 4-byte Folded Spill
	s_nop 0
	buffer_store_dword v34, off, s[36:39], 0 offset:1520 ; 4-byte Folded Spill
	buffer_store_dword v35, off, s[36:39], 0 offset:1524 ; 4-byte Folded Spill
	;; [unrolled: 1-line block ×3, first 2 shown]
	v_add_f64 v[77:78], v[61:62], v[65:66]
	v_fma_f64 v[67:68], v[21:22], v[33:34], v[19:20]
	v_lshrrev_b16_e32 v19, 9, v16
	v_mul_lo_u16_e32 v16, 9, v19
	v_sub_u16_e32 v16, v154, v16
	v_and_b32_e32 v20, 0xff, v16
	v_lshlrev_b32_e32 v16, 5, v20
	global_load_dwordx4 v[35:38], v16, s[14:15] offset:96
	ds_read_b128 v[27:30], v152 offset:12096
	ds_read_b128 v[31:34], v152 offset:13104
	v_add_f64 v[79:80], v[63:64], v[67:68]
	s_waitcnt vmcnt(0) lgkmcnt(1)
	v_mul_f64 v[21:22], v[29:30], v[37:38]
	v_fma_f64 v[69:70], v[27:28], v[35:36], -v[21:22]
	v_mul_f64 v[21:22], v[27:28], v[37:38]
	buffer_store_dword v35, off, s[36:39], 0 offset:1532 ; 4-byte Folded Spill
	s_nop 0
	buffer_store_dword v36, off, s[36:39], 0 offset:1536 ; 4-byte Folded Spill
	buffer_store_dword v37, off, s[36:39], 0 offset:1540 ; 4-byte Folded Spill
	;; [unrolled: 1-line block ×3, first 2 shown]
	v_fma_f64 v[71:72], v[29:30], v[35:36], v[21:22]
	global_load_dwordx4 v[27:30], v16, s[14:15] offset:112
	v_mul_u32_u24_sdwa v16, v15, s6 dst_sel:DWORD dst_unused:UNUSED_PAD src0_sel:WORD_0 src1_sel:DWORD
	s_waitcnt vmcnt(0)
	v_mul_f64 v[21:22], v[25:26], v[29:30]
	v_fma_f64 v[73:74], v[23:24], v[27:28], -v[21:22]
	v_mul_f64 v[21:22], v[23:24], v[29:30]
	buffer_store_dword v27, off, s[36:39], 0 offset:1552 ; 4-byte Folded Spill
	s_nop 0
	buffer_store_dword v28, off, s[36:39], 0 offset:1556 ; 4-byte Folded Spill
	buffer_store_dword v29, off, s[36:39], 0 offset:1560 ; 4-byte Folded Spill
	;; [unrolled: 1-line block ×3, first 2 shown]
	v_fma_f64 v[75:76], v[25:26], v[27:28], v[21:22]
	v_lshrrev_b32_e32 v21, 19, v16
	v_mul_lo_u16_e32 v16, 9, v21
	v_sub_u16_e32 v22, v15, v16
	v_lshlrev_b16_e32 v23, 5, v22
	v_mov_b32_e32 v16, s15
	v_add_co_u32_e32 v23, vcc, s14, v23
	v_addc_co_u32_e32 v24, vcc, 0, v16, vcc
	global_load_dwordx4 v[27:30], v[23:24], off offset:96
	s_waitcnt vmcnt(0) lgkmcnt(0)
	v_mul_f64 v[25:26], v[33:34], v[29:30]
	v_fma_f64 v[85:86], v[31:32], v[27:28], -v[25:26]
	v_mul_f64 v[25:26], v[31:32], v[29:30]
	buffer_store_dword v27, off, s[36:39], 0 offset:1568 ; 4-byte Folded Spill
	s_nop 0
	buffer_store_dword v28, off, s[36:39], 0 offset:1572 ; 4-byte Folded Spill
	buffer_store_dword v29, off, s[36:39], 0 offset:1576 ; 4-byte Folded Spill
	buffer_store_dword v30, off, s[36:39], 0 offset:1580 ; 4-byte Folded Spill
	v_fma_f64 v[87:88], v[33:34], v[27:28], v[25:26]
	global_load_dwordx4 v[33:36], v[23:24], off offset:112
	ds_read_b128 v[23:26], v152 offset:22176
	ds_read_b128 v[27:30], v152 offset:23184
	s_waitcnt vmcnt(0) lgkmcnt(1)
	v_mul_f64 v[31:32], v[25:26], v[35:36]
	v_fma_f64 v[89:90], v[23:24], v[33:34], -v[31:32]
	v_mul_f64 v[23:24], v[23:24], v[35:36]
	buffer_store_dword v33, off, s[36:39], 0 offset:1588 ; 4-byte Folded Spill
	s_nop 0
	buffer_store_dword v34, off, s[36:39], 0 offset:1592 ; 4-byte Folded Spill
	buffer_store_dword v35, off, s[36:39], 0 offset:1596 ; 4-byte Folded Spill
	;; [unrolled: 1-line block ×3, first 2 shown]
	v_add_f64 v[130:131], v[85:86], v[89:90]
	v_fma_f64 v[91:92], v[25:26], v[33:34], v[23:24]
	v_mul_u32_u24_sdwa v23, v14, s6 dst_sel:DWORD dst_unused:UNUSED_PAD src0_sel:WORD_0 src1_sel:DWORD
	v_lshrrev_b32_e32 v23, 19, v23
	v_mul_lo_u16_e32 v24, 9, v23
	v_sub_u16_e32 v24, v14, v24
	v_lshlrev_b16_e32 v25, 5, v24
	v_add_co_u32_e32 v25, vcc, s14, v25
	v_addc_co_u32_e32 v26, vcc, 0, v16, vcc
	global_load_dwordx4 v[132:135], v[25:26], off offset:96
	ds_read_b128 v[31:34], v152 offset:14112
	ds_read_b128 v[35:38], v152 offset:15120
	global_load_dwordx4 v[140:143], v[25:26], off offset:112
	v_add_f64 v[236:237], v[87:88], v[91:92]
	s_waitcnt vmcnt(1) lgkmcnt(1)
	v_mul_f64 v[39:40], v[33:34], v[134:135]
	s_waitcnt vmcnt(0)
	v_mul_f64 v[25:26], v[29:30], v[142:143]
	v_fma_f64 v[93:94], v[31:32], v[132:133], -v[39:40]
	v_mul_f64 v[31:32], v[31:32], v[134:135]
	v_fma_f64 v[97:98], v[27:28], v[140:141], -v[25:26]
	v_mul_f64 v[25:26], v[27:28], v[142:143]
	v_fma_f64 v[95:96], v[33:34], v[132:133], v[31:32]
	v_fma_f64 v[104:105], v[29:30], v[140:141], v[25:26]
	v_mul_u32_u24_sdwa v25, v7, s6 dst_sel:DWORD dst_unused:UNUSED_PAD src0_sel:WORD_0 src1_sel:DWORD
	v_lshrrev_b32_e32 v25, 19, v25
	v_mul_lo_u16_e32 v26, 9, v25
	v_sub_u16_e32 v26, v7, v26
	v_lshlrev_b16_e32 v27, 5, v26
	v_add_co_u32_e32 v27, vcc, s14, v27
	v_addc_co_u32_e32 v28, vcc, 0, v16, vcc
	global_load_dwordx4 v[100:103], v[27:28], off offset:96
	global_load_dwordx4 v[160:163], v[27:28], off offset:112
	s_waitcnt vmcnt(1) lgkmcnt(0)
	v_mul_f64 v[29:30], v[37:38], v[102:103]
	v_fma_f64 v[106:107], v[35:36], v[100:101], -v[29:30]
	v_mul_f64 v[29:30], v[35:36], v[102:103]
	v_fma_f64 v[108:109], v[37:38], v[100:101], v[29:30]
	ds_read_b128 v[27:30], v152 offset:24192
	ds_read_b128 v[31:34], v152 offset:25200
	s_waitcnt vmcnt(0) lgkmcnt(1)
	v_mul_f64 v[35:36], v[29:30], v[162:163]
	v_fma_f64 v[110:111], v[27:28], v[160:161], -v[35:36]
	v_mul_f64 v[27:28], v[27:28], v[162:163]
	v_fma_f64 v[112:113], v[29:30], v[160:161], v[27:28]
	v_mul_u32_u24_sdwa v27, v5, s6 dst_sel:DWORD dst_unused:UNUSED_PAD src0_sel:WORD_0 src1_sel:DWORD
	v_lshrrev_b32_e32 v27, 19, v27
	v_mul_lo_u16_e32 v28, 9, v27
	v_sub_u16_e32 v28, v5, v28
	v_lshlrev_b16_e32 v29, 5, v28
	v_add_co_u32_e32 v29, vcc, s14, v29
	v_addc_co_u32_e32 v30, vcc, 0, v16, vcc
	global_load_dwordx4 v[168:171], v[29:30], off offset:96
	ds_read_b128 v[35:38], v152 offset:16128
	ds_read_b128 v[39:42], v152 offset:17136
	global_load_dwordx4 v[180:183], v[29:30], off offset:112
	s_waitcnt vmcnt(1) lgkmcnt(1)
	v_mul_f64 v[59:60], v[37:38], v[170:171]
	s_waitcnt vmcnt(0)
	v_mul_f64 v[29:30], v[33:34], v[182:183]
	v_fma_f64 v[114:115], v[35:36], v[168:169], -v[59:60]
	v_mul_f64 v[35:36], v[35:36], v[170:171]
	v_fma_f64 v[118:119], v[31:32], v[180:181], -v[29:30]
	v_mul_f64 v[29:30], v[31:32], v[182:183]
	v_fma_f64 v[116:117], v[37:38], v[168:169], v[35:36]
	v_add_f64 v[37:38], v[43:44], v[47:48]
	v_fma_f64 v[120:121], v[33:34], v[180:181], v[29:30]
	v_mul_u32_u24_sdwa v29, v4, s6 dst_sel:DWORD dst_unused:UNUSED_PAD src0_sel:WORD_0 src1_sel:DWORD
	v_lshrrev_b32_e32 v99, 19, v29
	v_mul_lo_u16_e32 v29, 9, v99
	v_sub_u16_e32 v155, v4, v29
	v_lshlrev_b16_e32 v29, 5, v155
	v_add_co_u32_e32 v29, vcc, s14, v29
	v_addc_co_u32_e32 v30, vcc, 0, v16, vcc
	global_load_dwordx4 v[188:191], v[29:30], off offset:96
	global_load_dwordx4 v[196:199], v[29:30], off offset:112
	s_movk_i32 s6, 0x2f69
	s_waitcnt vmcnt(1) lgkmcnt(0)
	v_mul_f64 v[31:32], v[41:42], v[190:191]
	v_fma_f64 v[122:123], v[39:40], v[188:189], -v[31:32]
	v_mul_f64 v[31:32], v[39:40], v[190:191]
	v_fma_f64 v[124:125], v[41:42], v[188:189], v[31:32]
	ds_read_b128 v[29:32], v152 offset:26208
	v_add_f64 v[41:42], v[45:46], -v[49:50]
	s_waitcnt vmcnt(0) lgkmcnt(0)
	v_mul_f64 v[33:34], v[31:32], v[198:199]
	v_fma_f64 v[126:127], v[29:30], v[196:197], -v[33:34]
	v_mul_f64 v[29:30], v[29:30], v[198:199]
	v_fma_f64 v[128:129], v[31:32], v[196:197], v[29:30]
	ds_read_b128 v[29:32], v152
	ds_read_b128 v[33:36], v152 offset:1008
	s_waitcnt lgkmcnt(1)
	v_fma_f64 v[39:40], v[37:38], -0.5, v[29:30]
	v_add_f64 v[37:38], v[45:46], v[49:50]
	v_add_f64 v[29:30], v[29:30], v[43:44]
	v_add_f64 v[43:44], v[43:44], -v[47:48]
	v_fma_f64 v[59:60], v[37:38], -0.5, v[31:32]
	v_add_f64 v[31:32], v[31:32], v[45:46]
	v_add_f64 v[45:46], v[51:52], v[55:56]
	;; [unrolled: 1-line block ×3, first 2 shown]
	v_fma_f64 v[37:38], v[41:42], s[0:1], v[39:40]
	v_fma_f64 v[41:42], v[41:42], s[2:3], v[39:40]
	;; [unrolled: 1-line block ×3, first 2 shown]
	v_add_f64 v[31:32], v[31:32], v[49:50]
	s_waitcnt lgkmcnt(0)
	v_fma_f64 v[47:48], v[45:46], -0.5, v[33:34]
	v_add_f64 v[45:46], v[53:54], v[57:58]
	v_fma_f64 v[43:44], v[43:44], s[0:1], v[59:60]
	v_add_f64 v[33:34], v[33:34], v[51:52]
	v_add_f64 v[49:50], v[53:54], -v[57:58]
	v_add_f64 v[51:52], v[51:52], -v[55:56]
	v_fma_f64 v[59:60], v[45:46], -0.5, v[35:36]
	v_add_f64 v[35:36], v[35:36], v[53:54]
	v_add_f64 v[33:34], v[33:34], v[55:56]
	v_fma_f64 v[45:46], v[49:50], s[0:1], v[47:48]
	v_fma_f64 v[49:50], v[49:50], s[2:3], v[47:48]
	;; [unrolled: 1-line block ×3, first 2 shown]
	v_add_f64 v[35:36], v[35:36], v[57:58]
	v_fma_f64 v[51:52], v[51:52], s[0:1], v[59:60]
	ds_read_b128 v[53:56], v152 offset:2016
	ds_read_b128 v[57:60], v152 offset:3024
	s_waitcnt lgkmcnt(1)
	v_fma_f64 v[79:80], v[79:80], -0.5, v[55:56]
	v_add_f64 v[55:56], v[55:56], v[63:64]
	v_fma_f64 v[77:78], v[77:78], -0.5, v[53:54]
	v_add_f64 v[53:54], v[53:54], v[61:62]
	v_add_f64 v[63:64], v[63:64], -v[67:68]
	v_add_f64 v[55:56], v[55:56], v[67:68]
	v_add_f64 v[67:68], v[61:62], -v[65:66]
	v_add_f64 v[53:54], v[53:54], v[65:66]
	v_fma_f64 v[61:62], v[63:64], s[0:1], v[77:78]
	v_fma_f64 v[65:66], v[63:64], s[2:3], v[77:78]
	v_add_f64 v[77:78], v[69:70], v[73:74]
	v_fma_f64 v[63:64], v[67:68], s[2:3], v[79:80]
	v_fma_f64 v[67:68], v[67:68], s[0:1], v[79:80]
	v_add_f64 v[79:80], v[71:72], v[75:76]
	s_waitcnt lgkmcnt(0)
	v_fma_f64 v[77:78], v[77:78], -0.5, v[57:58]
	v_add_f64 v[57:58], v[57:58], v[69:70]
	v_fma_f64 v[79:80], v[79:80], -0.5, v[59:60]
	v_add_f64 v[59:60], v[59:60], v[71:72]
	v_add_f64 v[71:72], v[71:72], -v[75:76]
	v_add_f64 v[57:58], v[57:58], v[73:74]
	v_add_f64 v[59:60], v[59:60], v[75:76]
	v_add_f64 v[75:76], v[69:70], -v[73:74]
	v_fma_f64 v[69:70], v[71:72], s[0:1], v[77:78]
	v_fma_f64 v[73:74], v[71:72], s[2:3], v[77:78]
	v_fma_f64 v[71:72], v[75:76], s[2:3], v[79:80]
	v_fma_f64 v[75:76], v[75:76], s[0:1], v[79:80]
	ds_read_b128 v[77:80], v152 offset:4032
	ds_read_b128 v[81:84], v152 offset:5040
	;; [unrolled: 1-line block ×4, first 2 shown]
	s_waitcnt lgkmcnt(0)
	; wave barrier
	s_waitcnt lgkmcnt(0)
	v_fma_f64 v[130:131], v[130:131], -0.5, v[77:78]
	v_fma_f64 v[236:237], v[236:237], -0.5, v[79:80]
	v_add_f64 v[79:80], v[79:80], v[87:88]
	v_add_f64 v[77:78], v[77:78], v[85:86]
	v_add_f64 v[87:88], v[87:88], -v[91:92]
	ds_write_b128 v8, v[29:32]
	ds_write_b128 v8, v[37:40] offset:144
	buffer_store_dword v8, off, s[36:39], 0 offset:1476 ; 4-byte Folded Spill
	ds_write_b128 v8, v[41:44] offset:288
	v_mul_u32_u24_e32 v8, 27, v10
	v_add_lshl_u32 v8, v8, v11, 4
	v_add_f64 v[79:80], v[79:80], v[91:92]
	v_add_f64 v[77:78], v[77:78], v[89:90]
	v_add_f64 v[91:92], v[85:86], -v[89:90]
	v_fma_f64 v[85:86], v[87:88], s[0:1], v[130:131]
	v_fma_f64 v[89:90], v[87:88], s[2:3], v[130:131]
	v_add_f64 v[130:131], v[93:94], v[97:98]
	ds_write_b128 v8, v[33:36]
	ds_write_b128 v8, v[45:48] offset:144
	buffer_store_dword v8, off, s[36:39], 0 offset:1468 ; 4-byte Folded Spill
	ds_write_b128 v8, v[49:52] offset:288
	v_mul_u32_u24_e32 v8, 27, v17
	v_fma_f64 v[87:88], v[91:92], s[2:3], v[236:237]
	v_fma_f64 v[91:92], v[91:92], s[0:1], v[236:237]
	v_add_f64 v[236:237], v[95:96], v[104:105]
	v_fma_f64 v[130:131], v[130:131], -0.5, v[81:82]
	v_add_f64 v[81:82], v[81:82], v[93:94]
	v_add_lshl_u32 v8, v8, v18, 4
	ds_write_b128 v8, v[53:56]
	ds_write_b128 v8, v[61:64] offset:144
	buffer_store_dword v8, off, s[36:39], 0 offset:1348 ; 4-byte Folded Spill
	ds_write_b128 v8, v[65:68] offset:288
	v_mul_u32_u24_e32 v8, 27, v19
	v_fma_f64 v[238:239], v[236:237], -0.5, v[83:84]
	v_add_f64 v[83:84], v[83:84], v[95:96]
	v_add_f64 v[95:96], v[95:96], -v[104:105]
	v_add_f64 v[81:82], v[81:82], v[97:98]
	v_add_f64 v[97:98], v[93:94], -v[97:98]
	v_add_lshl_u32 v8, v8, v20, 4
	ds_write_b128 v8, v[57:60]
	ds_write_b128 v8, v[69:72] offset:144
	buffer_store_dword v8, off, s[36:39], 0 offset:1116 ; 4-byte Folded Spill
	ds_write_b128 v8, v[73:76] offset:288
	v_add_f64 v[83:84], v[83:84], v[104:105]
	v_fma_f64 v[93:94], v[95:96], s[0:1], v[130:131]
	v_fma_f64 v[236:237], v[95:96], s[2:3], v[130:131]
	;; [unrolled: 1-line block ×4, first 2 shown]
	v_add_f64 v[97:98], v[106:107], v[110:111]
	v_add_f64 v[104:105], v[108:109], v[112:113]
	;; [unrolled: 1-line block ×3, first 2 shown]
	v_add_f64 v[108:109], v[108:109], -v[112:113]
	v_mad_legacy_u16 v8, v21, 27, v22
	v_lshlrev_b32_e32 v8, 4, v8
	ds_write_b128 v8, v[77:80]
	ds_write_b128 v8, v[85:88] offset:144
	buffer_store_dword v8, off, s[36:39], 0 offset:1136 ; 4-byte Folded Spill
	v_fma_f64 v[97:98], v[97:98], -0.5, v[240:241]
	v_fma_f64 v[104:105], v[104:105], -0.5, v[242:243]
	v_add_f64 v[240:241], v[240:241], v[106:107]
	v_add_f64 v[106:107], v[106:107], -v[110:111]
	v_add_f64 v[242:243], v[130:131], v[112:113]
	v_add_f64 v[112:113], v[114:115], -v[118:119]
	ds_write_b128 v8, v[89:92] offset:288
	v_mad_legacy_u16 v8, v23, 27, v24
	v_fma_f64 v[248:249], v[108:109], s[0:1], v[97:98]
	v_fma_f64 v[252:253], v[108:109], s[2:3], v[97:98]
	v_add_f64 v[97:98], v[114:115], v[118:119]
	v_fma_f64 v[250:251], v[106:107], s[2:3], v[104:105]
	v_fma_f64 v[254:255], v[106:107], s[0:1], v[104:105]
	v_add_f64 v[104:105], v[116:117], v[120:121]
	v_add_f64 v[240:241], v[240:241], v[110:111]
	;; [unrolled: 1-line block ×3, first 2 shown]
	v_add_f64 v[108:109], v[116:117], -v[120:121]
	v_add_f64 v[114:115], v[124:125], -v[128:129]
	v_fma_f64 v[97:98], v[97:98], -0.5, v[244:245]
	v_lshlrev_b32_e32 v8, 4, v8
	ds_write_b128 v8, v[81:84]
	ds_write_b128 v8, v[93:96] offset:144
	v_fma_f64 v[110:111], v[104:105], -0.5, v[246:247]
	v_add_f64 v[104:105], v[246:247], v[116:117]
	v_add_f64 v[244:245], v[106:107], v[118:119]
	buffer_store_dword v8, off, s[36:39], 0 offset:1140 ; 4-byte Folded Spill
	ds_write_b128 v8, v[236:239] offset:288
	v_mad_legacy_u16 v8, v25, 27, v26
	v_lshlrev_b32_e32 v8, 4, v8
	ds_write_b128 v8, v[240:243]
	ds_write_b128 v8, v[248:251] offset:144
	v_fma_f64 v[106:107], v[112:113], s[2:3], v[110:111]
	v_add_f64 v[246:247], v[104:105], v[120:121]
	v_fma_f64 v[104:105], v[108:109], s[0:1], v[97:98]
	v_fma_f64 v[108:109], v[108:109], s[2:3], v[97:98]
	;; [unrolled: 1-line block ×3, first 2 shown]
	v_add_f64 v[97:98], v[122:123], v[126:127]
	v_add_f64 v[112:113], v[124:125], v[128:129]
	v_add_f64 v[120:121], v[122:123], -v[126:127]
	buffer_store_dword v8, off, s[36:39], 0 offset:1160 ; 4-byte Folded Spill
	ds_write_b128 v8, v[252:255] offset:288
	v_mad_legacy_u16 v8, v27, 27, v28
	v_lshlrev_b32_e32 v8, 4, v8
	ds_write_b128 v8, v[244:247]
	ds_write_b128 v8, v[104:107] offset:144
	v_fma_f64 v[97:98], v[97:98], -0.5, v[0:1]
	v_fma_f64 v[118:119], v[112:113], -0.5, v[2:3]
	v_add_f64 v[2:3], v[2:3], v[124:125]
	v_add_f64 v[0:1], v[0:1], v[122:123]
	buffer_store_dword v8, off, s[36:39], 0 offset:1164 ; 4-byte Folded Spill
	ds_write_b128 v8, v[108:111] offset:288
	v_mad_legacy_u16 v8, v99, 27, v155
	v_lshlrev_b32_e32 v8, 4, v8
	v_fma_f64 v[112:113], v[114:115], s[0:1], v[97:98]
	v_fma_f64 v[116:117], v[114:115], s[2:3], v[97:98]
	v_add_f64 v[2:3], v[2:3], v[128:129]
	v_add_f64 v[0:1], v[0:1], v[126:127]
	v_fma_f64 v[114:115], v[120:121], s[2:3], v[118:119]
	v_fma_f64 v[118:119], v[120:121], s[0:1], v[118:119]
	v_mov_b32_e32 v31, 19
	ds_write_b128 v8, v[0:3]
	ds_write_b128 v8, v[112:115] offset:144
	v_mul_lo_u16_sdwa v0, v153, v31 dst_sel:DWORD dst_unused:UNUSED_PAD src0_sel:BYTE_0 src1_sel:DWORD
	buffer_store_dword v8, off, s[36:39], 0 offset:1168 ; 4-byte Folded Spill
	ds_write_b128 v8, v[116:119] offset:288
	v_lshrrev_b16_e32 v8, 9, v0
	v_mul_lo_u16_e32 v0, 27, v8
	v_sub_u16_e32 v0, v153, v0
	v_and_b32_e32 v9, 0xff, v0
	v_lshlrev_b32_e32 v21, 5, v9
	s_waitcnt lgkmcnt(0)
	; wave barrier
	s_waitcnt lgkmcnt(0)
	global_load_dwordx4 v[22:25], v21, s[14:15] offset:384
	ds_read_b128 v[17:20], v152 offset:9072
	ds_read_b128 v[0:3], v152 offset:8064
	v_mul_lo_u16_e32 v8, 0x51, v8
	v_and_b32_e32 v8, 0xff, v8
	v_add_lshl_u32 v8, v8, v9, 4
	s_waitcnt vmcnt(0) lgkmcnt(1)
	v_mul_f64 v[10:11], v[19:20], v[24:25]
	v_fma_f64 v[43:44], v[17:18], v[22:23], -v[10:11]
	v_mul_f64 v[10:11], v[17:18], v[24:25]
	buffer_store_dword v22, off, s[36:39], 0 offset:1100 ; 4-byte Folded Spill
	s_nop 0
	buffer_store_dword v23, off, s[36:39], 0 offset:1104 ; 4-byte Folded Spill
	buffer_store_dword v24, off, s[36:39], 0 offset:1108 ; 4-byte Folded Spill
	;; [unrolled: 1-line block ×3, first 2 shown]
	global_load_dwordx4 v[25:28], v21, s[14:15] offset:400
	v_fma_f64 v[45:46], v[19:20], v[22:23], v[10:11]
	ds_read_b128 v[17:20], v152 offset:18144
	ds_read_b128 v[21:24], v152 offset:19152
	s_waitcnt vmcnt(0) lgkmcnt(1)
	v_mul_f64 v[10:11], v[19:20], v[27:28]
	v_fma_f64 v[47:48], v[17:18], v[25:26], -v[10:11]
	v_mul_f64 v[10:11], v[17:18], v[27:28]
	buffer_store_dword v25, off, s[36:39], 0 offset:1120 ; 4-byte Folded Spill
	s_nop 0
	buffer_store_dword v26, off, s[36:39], 0 offset:1124 ; 4-byte Folded Spill
	buffer_store_dword v27, off, s[36:39], 0 offset:1128 ; 4-byte Folded Spill
	;; [unrolled: 1-line block ×3, first 2 shown]
	v_fma_f64 v[49:50], v[19:20], v[25:26], v[10:11]
	v_mul_lo_u16_sdwa v10, v12, v31 dst_sel:DWORD dst_unused:UNUSED_PAD src0_sel:BYTE_0 src1_sel:DWORD
	v_lshrrev_b16_e32 v10, 9, v10
	v_mul_lo_u16_e32 v11, 27, v10
	v_sub_u16_e32 v11, v12, v11
	v_and_b32_e32 v11, 0xff, v11
	v_lshlrev_b32_e32 v32, 5, v11
	global_load_dwordx4 v[33:36], v32, s[14:15] offset:384
	ds_read_b128 v[17:20], v152 offset:10080
	ds_read_b128 v[25:28], v152 offset:11088
	s_waitcnt vmcnt(0) lgkmcnt(1)
	v_mul_f64 v[29:30], v[19:20], v[35:36]
	v_fma_f64 v[51:52], v[17:18], v[33:34], -v[29:30]
	v_mul_f64 v[17:18], v[17:18], v[35:36]
	buffer_store_dword v33, off, s[36:39], 0 offset:1144 ; 4-byte Folded Spill
	s_nop 0
	buffer_store_dword v34, off, s[36:39], 0 offset:1148 ; 4-byte Folded Spill
	buffer_store_dword v35, off, s[36:39], 0 offset:1152 ; 4-byte Folded Spill
	;; [unrolled: 1-line block ×3, first 2 shown]
	v_fma_f64 v[53:54], v[19:20], v[33:34], v[17:18]
	global_load_dwordx4 v[32:35], v32, s[14:15] offset:400
	s_waitcnt vmcnt(0)
	v_mul_f64 v[17:18], v[23:24], v[34:35]
	v_fma_f64 v[55:56], v[21:22], v[32:33], -v[17:18]
	v_mul_f64 v[17:18], v[21:22], v[34:35]
	buffer_store_dword v32, off, s[36:39], 0 offset:1172 ; 4-byte Folded Spill
	s_nop 0
	buffer_store_dword v33, off, s[36:39], 0 offset:1176 ; 4-byte Folded Spill
	buffer_store_dword v34, off, s[36:39], 0 offset:1180 ; 4-byte Folded Spill
	;; [unrolled: 1-line block ×3, first 2 shown]
	v_fma_f64 v[57:58], v[23:24], v[32:33], v[17:18]
	v_mul_lo_u16_sdwa v17, v6, v31 dst_sel:DWORD dst_unused:UNUSED_PAD src0_sel:BYTE_0 src1_sel:DWORD
	v_lshrrev_b16_e32 v17, 9, v17
	v_mul_lo_u16_e32 v18, 27, v17
	v_sub_u16_e32 v18, v6, v18
	v_and_b32_e32 v18, 0xff, v18
	v_lshlrev_b32_e32 v21, 5, v18
	global_load_dwordx4 v[32:35], v21, s[14:15] offset:384
	s_waitcnt vmcnt(0) lgkmcnt(0)
	v_mul_f64 v[19:20], v[27:28], v[34:35]
	v_fma_f64 v[61:62], v[25:26], v[32:33], -v[19:20]
	v_mul_f64 v[19:20], v[25:26], v[34:35]
	buffer_store_dword v32, off, s[36:39], 0 offset:1188 ; 4-byte Folded Spill
	s_nop 0
	buffer_store_dword v33, off, s[36:39], 0 offset:1192 ; 4-byte Folded Spill
	buffer_store_dword v34, off, s[36:39], 0 offset:1196 ; 4-byte Folded Spill
	buffer_store_dword v35, off, s[36:39], 0 offset:1200 ; 4-byte Folded Spill
	v_fma_f64 v[63:64], v[27:28], v[32:33], v[19:20]
	global_load_dwordx4 v[32:35], v21, s[14:15] offset:400
	ds_read_b128 v[19:22], v152 offset:20160
	ds_read_b128 v[23:26], v152 offset:21168
	s_waitcnt vmcnt(0) lgkmcnt(1)
	v_mul_f64 v[27:28], v[21:22], v[34:35]
	v_fma_f64 v[65:66], v[19:20], v[32:33], -v[27:28]
	v_mul_f64 v[19:20], v[19:20], v[34:35]
	buffer_store_dword v32, off, s[36:39], 0 offset:1204 ; 4-byte Folded Spill
	s_nop 0
	buffer_store_dword v33, off, s[36:39], 0 offset:1208 ; 4-byte Folded Spill
	buffer_store_dword v34, off, s[36:39], 0 offset:1212 ; 4-byte Folded Spill
	;; [unrolled: 1-line block ×3, first 2 shown]
	v_fma_f64 v[67:68], v[21:22], v[32:33], v[19:20]
	v_mul_lo_u16_sdwa v19, v154, v31 dst_sel:DWORD dst_unused:UNUSED_PAD src0_sel:BYTE_0 src1_sel:DWORD
	v_lshrrev_b16_e32 v19, 9, v19
	v_mul_lo_u16_e32 v20, 27, v19
	v_sub_u16_e32 v20, v154, v20
	v_and_b32_e32 v20, 0xff, v20
	v_lshlrev_b32_e32 v35, 5, v20
	global_load_dwordx4 v[36:39], v35, s[14:15] offset:384
	ds_read_b128 v[27:30], v152 offset:12096
	ds_read_b128 v[31:34], v152 offset:13104
	s_waitcnt vmcnt(0) lgkmcnt(1)
	v_mul_f64 v[21:22], v[29:30], v[38:39]
	v_fma_f64 v[69:70], v[27:28], v[36:37], -v[21:22]
	v_mul_f64 v[21:22], v[27:28], v[38:39]
	buffer_store_dword v36, off, s[36:39], 0 offset:1220 ; 4-byte Folded Spill
	s_nop 0
	buffer_store_dword v37, off, s[36:39], 0 offset:1224 ; 4-byte Folded Spill
	buffer_store_dword v38, off, s[36:39], 0 offset:1228 ; 4-byte Folded Spill
	;; [unrolled: 1-line block ×3, first 2 shown]
	v_fma_f64 v[71:72], v[29:30], v[36:37], v[21:22]
	global_load_dwordx4 v[27:30], v35, s[14:15] offset:400
	s_waitcnt vmcnt(0)
	v_mul_f64 v[21:22], v[25:26], v[29:30]
	v_fma_f64 v[73:74], v[23:24], v[27:28], -v[21:22]
	v_mul_f64 v[21:22], v[23:24], v[29:30]
	buffer_store_dword v27, off, s[36:39], 0 offset:1236 ; 4-byte Folded Spill
	s_nop 0
	buffer_store_dword v28, off, s[36:39], 0 offset:1240 ; 4-byte Folded Spill
	buffer_store_dword v29, off, s[36:39], 0 offset:1244 ; 4-byte Folded Spill
	buffer_store_dword v30, off, s[36:39], 0 offset:1248 ; 4-byte Folded Spill
	v_fma_f64 v[75:76], v[25:26], v[27:28], v[21:22]
	v_mul_u32_u24_sdwa v21, v15, s6 dst_sel:DWORD dst_unused:UNUSED_PAD src0_sel:WORD_0 src1_sel:DWORD
	v_sub_u16_sdwa v22, v15, v21 dst_sel:DWORD dst_unused:UNUSED_PAD src0_sel:DWORD src1_sel:WORD_1
	v_lshrrev_b16_e32 v22, 1, v22
	v_add_u16_sdwa v21, v22, v21 dst_sel:DWORD dst_unused:UNUSED_PAD src0_sel:DWORD src1_sel:WORD_1
	v_lshrrev_b16_e32 v21, 4, v21
	v_mul_lo_u16_e32 v22, 27, v21
	v_sub_u16_e32 v22, v15, v22
	v_lshlrev_b16_e32 v23, 5, v22
	v_add_co_u32_e32 v23, vcc, s14, v23
	v_addc_co_u32_e32 v24, vcc, 0, v16, vcc
	global_load_dwordx4 v[27:30], v[23:24], off offset:384
	s_waitcnt vmcnt(0) lgkmcnt(0)
	v_mul_f64 v[25:26], v[33:34], v[29:30]
	v_fma_f64 v[85:86], v[31:32], v[27:28], -v[25:26]
	v_mul_f64 v[25:26], v[31:32], v[29:30]
	buffer_store_dword v27, off, s[36:39], 0 offset:1252 ; 4-byte Folded Spill
	s_nop 0
	buffer_store_dword v28, off, s[36:39], 0 offset:1256 ; 4-byte Folded Spill
	buffer_store_dword v29, off, s[36:39], 0 offset:1260 ; 4-byte Folded Spill
	;; [unrolled: 1-line block ×3, first 2 shown]
	v_fma_f64 v[87:88], v[33:34], v[27:28], v[25:26]
	global_load_dwordx4 v[33:36], v[23:24], off offset:400
	ds_read_b128 v[23:26], v152 offset:22176
	ds_read_b128 v[27:30], v152 offset:23184
	s_waitcnt vmcnt(0) lgkmcnt(1)
	v_mul_f64 v[31:32], v[25:26], v[35:36]
	v_fma_f64 v[89:90], v[23:24], v[33:34], -v[31:32]
	v_mul_f64 v[23:24], v[23:24], v[35:36]
	buffer_store_dword v33, off, s[36:39], 0 offset:1268 ; 4-byte Folded Spill
	s_nop 0
	buffer_store_dword v34, off, s[36:39], 0 offset:1272 ; 4-byte Folded Spill
	buffer_store_dword v35, off, s[36:39], 0 offset:1276 ; 4-byte Folded Spill
	;; [unrolled: 1-line block ×3, first 2 shown]
	v_add_f64 v[106:107], v[85:86], v[89:90]
	v_fma_f64 v[91:92], v[25:26], v[33:34], v[23:24]
	v_mul_u32_u24_sdwa v23, v14, s6 dst_sel:DWORD dst_unused:UNUSED_PAD src0_sel:WORD_0 src1_sel:DWORD
	v_sub_u16_sdwa v24, v14, v23 dst_sel:DWORD dst_unused:UNUSED_PAD src0_sel:DWORD src1_sel:WORD_1
	v_lshrrev_b16_e32 v24, 1, v24
	v_add_u16_sdwa v23, v24, v23 dst_sel:DWORD dst_unused:UNUSED_PAD src0_sel:DWORD src1_sel:WORD_1
	v_lshrrev_b16_e32 v23, 4, v23
	v_mul_lo_u16_e32 v24, 27, v23
	v_sub_u16_e32 v24, v14, v24
	v_lshlrev_b16_e32 v25, 5, v24
	v_add_co_u32_e32 v25, vcc, s14, v25
	v_addc_co_u32_e32 v26, vcc, 0, v16, vcc
	global_load_dwordx4 v[77:80], v[25:26], off offset:384
	ds_read_b128 v[31:34], v152 offset:14112
	ds_read_b128 v[35:38], v152 offset:15120
	v_add_f64 v[108:109], v[87:88], v[91:92]
	s_waitcnt vmcnt(0) lgkmcnt(1)
	v_mul_f64 v[39:40], v[33:34], v[79:80]
	v_fma_f64 v[93:94], v[31:32], v[77:78], -v[39:40]
	v_mul_f64 v[31:32], v[31:32], v[79:80]
	buffer_store_dword v77, off, s[36:39], 0 offset:1284 ; 4-byte Folded Spill
	s_nop 0
	buffer_store_dword v78, off, s[36:39], 0 offset:1288 ; 4-byte Folded Spill
	buffer_store_dword v79, off, s[36:39], 0 offset:1292 ; 4-byte Folded Spill
	;; [unrolled: 1-line block ×3, first 2 shown]
	v_fma_f64 v[95:96], v[33:34], v[77:78], v[31:32]
	global_load_dwordx4 v[31:34], v[25:26], off offset:400
	s_waitcnt vmcnt(0)
	v_mul_f64 v[25:26], v[29:30], v[33:34]
	v_fma_f64 v[97:98], v[27:28], v[31:32], -v[25:26]
	v_mul_f64 v[25:26], v[27:28], v[33:34]
	buffer_store_dword v31, off, s[36:39], 0 offset:1300 ; 4-byte Folded Spill
	s_nop 0
	buffer_store_dword v32, off, s[36:39], 0 offset:1304 ; 4-byte Folded Spill
	buffer_store_dword v33, off, s[36:39], 0 offset:1308 ; 4-byte Folded Spill
	;; [unrolled: 1-line block ×3, first 2 shown]
	v_fma_f64 v[104:105], v[29:30], v[31:32], v[25:26]
	v_mul_u32_u24_sdwa v25, v7, s6 dst_sel:DWORD dst_unused:UNUSED_PAD src0_sel:WORD_0 src1_sel:DWORD
	v_sub_u16_sdwa v26, v7, v25 dst_sel:DWORD dst_unused:UNUSED_PAD src0_sel:DWORD src1_sel:WORD_1
	v_lshrrev_b16_e32 v26, 1, v26
	v_add_u16_sdwa v25, v26, v25 dst_sel:DWORD dst_unused:UNUSED_PAD src0_sel:DWORD src1_sel:WORD_1
	v_lshrrev_b16_e32 v25, 4, v25
	v_mul_lo_u16_e32 v26, 27, v25
	v_sub_u16_e32 v26, v7, v26
	v_lshlrev_b16_e32 v27, 5, v26
	v_add_co_u32_e32 v27, vcc, s14, v27
	v_addc_co_u32_e32 v28, vcc, 0, v16, vcc
	global_load_dwordx4 v[31:34], v[27:28], off offset:384
	s_waitcnt vmcnt(0) lgkmcnt(0)
	v_mul_f64 v[29:30], v[37:38], v[33:34]
	v_fma_f64 v[116:117], v[35:36], v[31:32], -v[29:30]
	v_mul_f64 v[29:30], v[35:36], v[33:34]
	buffer_store_dword v31, off, s[36:39], 0 offset:1316 ; 4-byte Folded Spill
	s_nop 0
	buffer_store_dword v32, off, s[36:39], 0 offset:1320 ; 4-byte Folded Spill
	buffer_store_dword v33, off, s[36:39], 0 offset:1324 ; 4-byte Folded Spill
	buffer_store_dword v34, off, s[36:39], 0 offset:1328 ; 4-byte Folded Spill
	v_fma_f64 v[118:119], v[37:38], v[31:32], v[29:30]
	global_load_dwordx4 v[37:40], v[27:28], off offset:400
	ds_read_b128 v[27:30], v152 offset:24192
	ds_read_b128 v[31:34], v152 offset:25200
	s_waitcnt vmcnt(0) lgkmcnt(1)
	v_mul_f64 v[35:36], v[29:30], v[39:40]
	v_fma_f64 v[120:121], v[27:28], v[37:38], -v[35:36]
	v_mul_f64 v[27:28], v[27:28], v[39:40]
	buffer_store_dword v37, off, s[36:39], 0 offset:1332 ; 4-byte Folded Spill
	s_nop 0
	buffer_store_dword v38, off, s[36:39], 0 offset:1336 ; 4-byte Folded Spill
	buffer_store_dword v39, off, s[36:39], 0 offset:1340 ; 4-byte Folded Spill
	;; [unrolled: 1-line block ×3, first 2 shown]
	v_fma_f64 v[122:123], v[29:30], v[37:38], v[27:28]
	v_mul_u32_u24_sdwa v27, v5, s6 dst_sel:DWORD dst_unused:UNUSED_PAD src0_sel:WORD_0 src1_sel:DWORD
	v_sub_u16_sdwa v28, v5, v27 dst_sel:DWORD dst_unused:UNUSED_PAD src0_sel:DWORD src1_sel:WORD_1
	v_lshrrev_b16_e32 v28, 1, v28
	v_add_u16_sdwa v27, v28, v27 dst_sel:DWORD dst_unused:UNUSED_PAD src0_sel:DWORD src1_sel:WORD_1
	v_lshrrev_b16_e32 v27, 4, v27
	v_mul_lo_u16_e32 v28, 27, v27
	v_sub_u16_e32 v28, v5, v28
	v_lshlrev_b16_e32 v29, 5, v28
	v_add_co_u32_e32 v29, vcc, s14, v29
	v_addc_co_u32_e32 v30, vcc, 0, v16, vcc
	global_load_dwordx4 v[77:80], v[29:30], off offset:384
	ds_read_b128 v[35:38], v152 offset:16128
	ds_read_b128 v[39:42], v152 offset:17136
	v_add_f64 v[236:237], v[118:119], v[122:123]
	s_waitcnt vmcnt(0) lgkmcnt(1)
	v_mul_f64 v[59:60], v[37:38], v[79:80]
	v_fma_f64 v[124:125], v[35:36], v[77:78], -v[59:60]
	v_mul_f64 v[35:36], v[35:36], v[79:80]
	buffer_store_dword v77, off, s[36:39], 0 offset:1352 ; 4-byte Folded Spill
	s_nop 0
	buffer_store_dword v78, off, s[36:39], 0 offset:1356 ; 4-byte Folded Spill
	buffer_store_dword v79, off, s[36:39], 0 offset:1360 ; 4-byte Folded Spill
	;; [unrolled: 1-line block ×3, first 2 shown]
	v_add_f64 v[79:80], v[63:64], v[67:68]
	v_fma_f64 v[126:127], v[37:38], v[77:78], v[35:36]
	global_load_dwordx4 v[35:38], v[29:30], off offset:400
	v_add_f64 v[77:78], v[61:62], v[65:66]
	s_waitcnt vmcnt(0)
	v_mul_f64 v[29:30], v[33:34], v[37:38]
	v_fma_f64 v[128:129], v[31:32], v[35:36], -v[29:30]
	v_mul_f64 v[29:30], v[31:32], v[37:38]
	buffer_store_dword v35, off, s[36:39], 0 offset:1368 ; 4-byte Folded Spill
	s_nop 0
	buffer_store_dword v36, off, s[36:39], 0 offset:1372 ; 4-byte Folded Spill
	buffer_store_dword v37, off, s[36:39], 0 offset:1376 ; 4-byte Folded Spill
	;; [unrolled: 1-line block ×3, first 2 shown]
	v_fma_f64 v[130:131], v[33:34], v[35:36], v[29:30]
	v_mul_u32_u24_sdwa v29, v4, s6 dst_sel:DWORD dst_unused:UNUSED_PAD src0_sel:WORD_0 src1_sel:DWORD
	v_sub_u16_sdwa v30, v4, v29 dst_sel:DWORD dst_unused:UNUSED_PAD src0_sel:DWORD src1_sel:WORD_1
	v_lshrrev_b16_e32 v30, 1, v30
	v_add_u16_sdwa v29, v30, v29 dst_sel:DWORD dst_unused:UNUSED_PAD src0_sel:DWORD src1_sel:WORD_1
	v_lshrrev_b16_e32 v99, 4, v29
	v_mul_lo_u16_e32 v29, 27, v99
	v_sub_u16_e32 v155, v4, v29
	v_lshlrev_b16_e32 v29, 5, v155
	v_add_co_u32_e32 v29, vcc, s14, v29
	v_addc_co_u32_e32 v30, vcc, 0, v16, vcc
	global_load_dwordx4 v[33:36], v[29:30], off offset:384
	s_movk_i32 s6, 0x51
	s_waitcnt vmcnt(0) lgkmcnt(0)
	v_mul_f64 v[31:32], v[41:42], v[35:36]
	v_fma_f64 v[248:249], v[39:40], v[33:34], -v[31:32]
	v_mul_f64 v[31:32], v[39:40], v[35:36]
	buffer_store_dword v33, off, s[36:39], 0 offset:1384 ; 4-byte Folded Spill
	s_nop 0
	buffer_store_dword v34, off, s[36:39], 0 offset:1388 ; 4-byte Folded Spill
	buffer_store_dword v35, off, s[36:39], 0 offset:1392 ; 4-byte Folded Spill
	;; [unrolled: 1-line block ×3, first 2 shown]
	global_load_dwordx4 v[35:38], v[29:30], off offset:400
	v_fma_f64 v[250:251], v[41:42], v[33:34], v[31:32]
	ds_read_b128 v[29:32], v152 offset:26208
	v_add_f64 v[41:42], v[45:46], -v[49:50]
	s_waitcnt vmcnt(0) lgkmcnt(0)
	v_mul_f64 v[33:34], v[31:32], v[37:38]
	v_fma_f64 v[252:253], v[29:30], v[35:36], -v[33:34]
	v_mul_f64 v[29:30], v[29:30], v[37:38]
	buffer_store_dword v35, off, s[36:39], 0 offset:1400 ; 4-byte Folded Spill
	s_nop 0
	buffer_store_dword v36, off, s[36:39], 0 offset:1404 ; 4-byte Folded Spill
	buffer_store_dword v37, off, s[36:39], 0 offset:1408 ; 4-byte Folded Spill
	buffer_store_dword v38, off, s[36:39], 0 offset:1412 ; 4-byte Folded Spill
	v_add_f64 v[37:38], v[43:44], v[47:48]
	v_fma_f64 v[254:255], v[31:32], v[35:36], v[29:30]
	ds_read_b128 v[29:32], v152
	ds_read_b128 v[33:36], v152 offset:1008
	s_waitcnt lgkmcnt(1)
	v_fma_f64 v[39:40], v[37:38], -0.5, v[29:30]
	v_add_f64 v[37:38], v[45:46], v[49:50]
	v_add_f64 v[29:30], v[29:30], v[43:44]
	v_add_f64 v[43:44], v[43:44], -v[47:48]
	v_fma_f64 v[59:60], v[37:38], -0.5, v[31:32]
	v_add_f64 v[31:32], v[31:32], v[45:46]
	v_add_f64 v[45:46], v[51:52], v[55:56]
	;; [unrolled: 1-line block ×3, first 2 shown]
	v_fma_f64 v[37:38], v[41:42], s[0:1], v[39:40]
	v_fma_f64 v[41:42], v[41:42], s[2:3], v[39:40]
	;; [unrolled: 1-line block ×3, first 2 shown]
	v_add_f64 v[31:32], v[31:32], v[49:50]
	s_waitcnt lgkmcnt(0)
	v_fma_f64 v[47:48], v[45:46], -0.5, v[33:34]
	v_add_f64 v[45:46], v[53:54], v[57:58]
	v_fma_f64 v[43:44], v[43:44], s[0:1], v[59:60]
	v_add_f64 v[33:34], v[33:34], v[51:52]
	v_add_f64 v[49:50], v[53:54], -v[57:58]
	v_add_f64 v[51:52], v[51:52], -v[55:56]
	v_fma_f64 v[59:60], v[45:46], -0.5, v[35:36]
	v_add_f64 v[35:36], v[35:36], v[53:54]
	v_add_f64 v[33:34], v[33:34], v[55:56]
	v_fma_f64 v[45:46], v[49:50], s[0:1], v[47:48]
	v_fma_f64 v[49:50], v[49:50], s[2:3], v[47:48]
	;; [unrolled: 1-line block ×3, first 2 shown]
	v_add_f64 v[35:36], v[35:36], v[57:58]
	v_fma_f64 v[51:52], v[51:52], s[0:1], v[59:60]
	ds_read_b128 v[53:56], v152 offset:2016
	ds_read_b128 v[57:60], v152 offset:3024
	s_waitcnt lgkmcnt(1)
	v_fma_f64 v[79:80], v[79:80], -0.5, v[55:56]
	v_add_f64 v[55:56], v[55:56], v[63:64]
	v_fma_f64 v[77:78], v[77:78], -0.5, v[53:54]
	v_add_f64 v[53:54], v[53:54], v[61:62]
	v_add_f64 v[63:64], v[63:64], -v[67:68]
	v_add_f64 v[55:56], v[55:56], v[67:68]
	v_add_f64 v[67:68], v[61:62], -v[65:66]
	v_add_f64 v[53:54], v[53:54], v[65:66]
	v_fma_f64 v[61:62], v[63:64], s[0:1], v[77:78]
	v_fma_f64 v[65:66], v[63:64], s[2:3], v[77:78]
	v_add_f64 v[77:78], v[69:70], v[73:74]
	v_fma_f64 v[63:64], v[67:68], s[2:3], v[79:80]
	v_fma_f64 v[67:68], v[67:68], s[0:1], v[79:80]
	v_add_f64 v[79:80], v[71:72], v[75:76]
	s_waitcnt lgkmcnt(0)
	v_fma_f64 v[77:78], v[77:78], -0.5, v[57:58]
	v_add_f64 v[57:58], v[57:58], v[69:70]
	v_fma_f64 v[79:80], v[79:80], -0.5, v[59:60]
	v_add_f64 v[59:60], v[59:60], v[71:72]
	v_add_f64 v[71:72], v[71:72], -v[75:76]
	v_add_f64 v[57:58], v[57:58], v[73:74]
	v_add_f64 v[59:60], v[59:60], v[75:76]
	v_add_f64 v[75:76], v[69:70], -v[73:74]
	v_fma_f64 v[69:70], v[71:72], s[0:1], v[77:78]
	v_fma_f64 v[73:74], v[71:72], s[2:3], v[77:78]
	v_fma_f64 v[71:72], v[75:76], s[2:3], v[79:80]
	v_fma_f64 v[75:76], v[75:76], s[0:1], v[79:80]
	ds_read_b128 v[77:80], v152 offset:4032
	ds_read_b128 v[81:84], v152 offset:5040
	s_waitcnt lgkmcnt(1)
	v_fma_f64 v[106:107], v[106:107], -0.5, v[77:78]
	v_fma_f64 v[108:109], v[108:109], -0.5, v[79:80]
	v_add_f64 v[79:80], v[79:80], v[87:88]
	v_add_f64 v[77:78], v[77:78], v[85:86]
	v_add_f64 v[87:88], v[87:88], -v[91:92]
	v_add_f64 v[79:80], v[79:80], v[91:92]
	v_add_f64 v[77:78], v[77:78], v[89:90]
	v_add_f64 v[91:92], v[85:86], -v[89:90]
	v_fma_f64 v[85:86], v[87:88], s[0:1], v[106:107]
	v_fma_f64 v[89:90], v[87:88], s[2:3], v[106:107]
	v_add_f64 v[106:107], v[93:94], v[97:98]
	v_fma_f64 v[87:88], v[91:92], s[2:3], v[108:109]
	v_fma_f64 v[91:92], v[91:92], s[0:1], v[108:109]
	v_add_f64 v[108:109], v[95:96], v[104:105]
	s_waitcnt lgkmcnt(0)
	v_fma_f64 v[106:107], v[106:107], -0.5, v[81:82]
	v_add_f64 v[81:82], v[81:82], v[93:94]
	v_fma_f64 v[108:109], v[108:109], -0.5, v[83:84]
	v_add_f64 v[83:84], v[83:84], v[95:96]
	v_add_f64 v[95:96], v[95:96], -v[104:105]
	v_add_f64 v[81:82], v[81:82], v[97:98]
	v_add_f64 v[97:98], v[93:94], -v[97:98]
	v_add_f64 v[83:84], v[83:84], v[104:105]
	v_fma_f64 v[93:94], v[95:96], s[0:1], v[106:107]
	v_fma_f64 v[104:105], v[95:96], s[2:3], v[106:107]
	;; [unrolled: 1-line block ×4, first 2 shown]
	v_add_f64 v[97:98], v[116:117], v[120:121]
	ds_read_b128 v[108:111], v152 offset:6048
	ds_read_b128 v[112:115], v152 offset:7056
	s_waitcnt lgkmcnt(0)
	; wave barrier
	s_waitcnt lgkmcnt(0)
	ds_write_b128 v8, v[29:32]
	ds_write_b128 v8, v[37:40] offset:432
	v_fma_f64 v[238:239], v[236:237], -0.5, v[110:111]
	v_add_f64 v[110:111], v[110:111], v[118:119]
	v_add_f64 v[118:119], v[118:119], -v[122:123]
	v_fma_f64 v[97:98], v[97:98], -0.5, v[108:109]
	v_add_f64 v[108:109], v[108:109], v[116:117]
	buffer_store_dword v8, off, s[36:39], 0 offset:760 ; 4-byte Folded Spill
	ds_write_b128 v8, v[41:44] offset:864
	v_mul_u32_u24_e32 v8, 0x51, v10
	v_add_lshl_u32 v8, v8, v11, 4
	v_add_f64 v[110:111], v[110:111], v[122:123]
	v_add_f64 v[122:123], v[126:127], -v[130:131]
	v_fma_f64 v[236:237], v[118:119], s[2:3], v[97:98]
	v_add_f64 v[108:109], v[108:109], v[120:121]
	v_add_f64 v[120:121], v[116:117], -v[120:121]
	v_fma_f64 v[116:117], v[118:119], s[0:1], v[97:98]
	v_add_f64 v[97:98], v[124:125], v[128:129]
	ds_write_b128 v8, v[33:36]
	ds_write_b128 v8, v[45:48] offset:432
	buffer_store_dword v8, off, s[36:39], 0 offset:764 ; 4-byte Folded Spill
	ds_write_b128 v8, v[49:52] offset:864
	v_mul_u32_u24_e32 v8, 0x51, v17
	v_add_lshl_u32 v8, v8, v18, 4
	v_fma_f64 v[118:119], v[120:121], s[2:3], v[238:239]
	v_fma_f64 v[238:239], v[120:121], s[0:1], v[238:239]
	v_add_f64 v[120:121], v[126:127], v[130:131]
	v_fma_f64 v[97:98], v[97:98], -0.5, v[112:113]
	v_add_f64 v[112:113], v[112:113], v[124:125]
	v_add_f64 v[124:125], v[124:125], -v[128:129]
	ds_write_b128 v8, v[53:56]
	ds_write_b128 v8, v[61:64] offset:432
	buffer_store_dword v8, off, s[36:39], 0 offset:768 ; 4-byte Folded Spill
	ds_write_b128 v8, v[65:68] offset:864
	v_mul_u32_u24_e32 v8, 0x51, v19
	v_fma_f64 v[120:121], v[120:121], -0.5, v[114:115]
	v_fma_f64 v[240:241], v[122:123], s[0:1], v[97:98]
	v_fma_f64 v[244:245], v[122:123], s[2:3], v[97:98]
	v_add_f64 v[97:98], v[248:249], v[252:253]
	v_add_f64 v[114:115], v[114:115], v[126:127]
	v_add_f64 v[122:123], v[250:251], -v[254:255]
	v_add_lshl_u32 v8, v8, v20, 4
	v_add_f64 v[112:113], v[112:113], v[128:129]
	v_fma_f64 v[242:243], v[124:125], s[2:3], v[120:121]
	v_fma_f64 v[246:247], v[124:125], s[0:1], v[120:121]
	v_add_f64 v[120:121], v[250:251], v[254:255]
	v_fma_f64 v[97:98], v[97:98], -0.5, v[0:1]
	v_add_f64 v[0:1], v[0:1], v[248:249]
	v_add_f64 v[124:125], v[248:249], -v[252:253]
	v_add_f64 v[114:115], v[114:115], v[130:131]
	ds_write_b128 v8, v[57:60]
	ds_write_b128 v8, v[69:72] offset:432
	buffer_store_dword v8, off, s[36:39], 0 offset:788 ; 4-byte Folded Spill
	ds_write_b128 v8, v[73:76] offset:864
	v_fma_f64 v[120:121], v[120:121], -0.5, v[2:3]
	v_add_f64 v[2:3], v[2:3], v[250:251]
	v_mad_legacy_u16 v8, v21, s6, v22
	v_lshlrev_b32_e32 v8, 4, v8
	v_add_f64 v[0:1], v[0:1], v[252:253]
	v_fma_f64 v[252:253], v[122:123], s[2:3], v[97:98]
	ds_write_b128 v8, v[77:80]
	ds_write_b128 v8, v[85:88] offset:432
	buffer_store_dword v8, off, s[36:39], 0 offset:792 ; 4-byte Folded Spill
	ds_write_b128 v8, v[89:92] offset:864
	v_add_f64 v[2:3], v[2:3], v[254:255]
	v_fma_f64 v[254:255], v[124:125], s[0:1], v[120:121]
	v_mad_legacy_u16 v8, v23, s6, v24
	v_fma_f64 v[248:249], v[122:123], s[0:1], v[97:98]
	v_fma_f64 v[250:251], v[124:125], s[2:3], v[120:121]
	v_lshlrev_b32_e32 v8, 4, v8
	ds_write_b128 v8, v[81:84]
	ds_write_b128 v8, v[93:96] offset:432
	buffer_store_dword v8, off, s[36:39], 0 offset:796 ; 4-byte Folded Spill
	ds_write_b128 v8, v[104:107] offset:864
	v_mad_legacy_u16 v8, v25, s6, v26
	v_lshlrev_b32_e32 v8, 4, v8
	ds_write_b128 v8, v[108:111]
	ds_write_b128 v8, v[116:119] offset:432
	buffer_store_dword v8, off, s[36:39], 0 offset:832 ; 4-byte Folded Spill
	ds_write_b128 v8, v[236:239] offset:864
	v_mad_legacy_u16 v8, v27, s6, v28
	v_lshlrev_b32_e32 v8, 4, v8
	ds_write_b128 v8, v[112:115]
	ds_write_b128 v8, v[240:243] offset:432
	buffer_store_dword v8, off, s[36:39], 0 offset:836 ; 4-byte Folded Spill
	ds_write_b128 v8, v[244:247] offset:864
	v_mad_legacy_u16 v8, v99, s6, v155
	v_lshlrev_b32_e32 v8, 4, v8
	v_lshlrev_b32_e32 v19, 5, v153
	ds_write_b128 v8, v[0:3]
	ds_write_b128 v8, v[248:251] offset:432
	buffer_store_dword v8, off, s[36:39], 0 offset:840 ; 4-byte Folded Spill
	ds_write_b128 v8, v[252:255] offset:864
	s_waitcnt lgkmcnt(0)
	; wave barrier
	s_waitcnt lgkmcnt(0)
	global_load_dwordx4 v[20:23], v19, s[14:15] offset:1248
	ds_read_b128 v[0:3], v152 offset:9072
	ds_read_b128 v[8:11], v152 offset:8064
	s_movk_i32 s6, 0xffee
	s_waitcnt vmcnt(0) lgkmcnt(1)
	v_mul_f64 v[17:18], v[2:3], v[22:23]
	v_fma_f64 v[17:18], v[0:1], v[20:21], -v[17:18]
	v_mul_f64 v[0:1], v[0:1], v[22:23]
	buffer_store_dword v20, off, s[36:39], 0 offset:772 ; 4-byte Folded Spill
	s_nop 0
	buffer_store_dword v21, off, s[36:39], 0 offset:776 ; 4-byte Folded Spill
	buffer_store_dword v22, off, s[36:39], 0 offset:780 ; 4-byte Folded Spill
	;; [unrolled: 1-line block ×3, first 2 shown]
	global_load_dwordx4 v[26:29], v19, s[14:15] offset:1264
	v_fma_f64 v[36:37], v[2:3], v[20:21], v[0:1]
	ds_read_b128 v[0:3], v152 offset:18144
	ds_read_b128 v[22:25], v152 offset:19152
	s_waitcnt vmcnt(0) lgkmcnt(1)
	v_mul_f64 v[19:20], v[2:3], v[28:29]
	v_fma_f64 v[38:39], v[0:1], v[26:27], -v[19:20]
	v_mul_f64 v[0:1], v[0:1], v[28:29]
	buffer_store_dword v26, off, s[36:39], 0 offset:800 ; 4-byte Folded Spill
	s_nop 0
	buffer_store_dword v27, off, s[36:39], 0 offset:804 ; 4-byte Folded Spill
	buffer_store_dword v28, off, s[36:39], 0 offset:808 ; 4-byte Folded Spill
	;; [unrolled: 1-line block ×3, first 2 shown]
	v_fma_f64 v[40:41], v[2:3], v[26:27], v[0:1]
	v_add_co_u32_e32 v0, vcc, s6, v153
	v_addc_co_u32_e64 v1, s[6:7], 0, -1, vcc
	v_cmp_gt_u16_e32 vcc, 18, v153
	v_cndmask_b32_e32 v21, v1, v13, vcc
	v_cndmask_b32_e32 v20, v0, v12, vcc
	v_lshlrev_b64 v[0:1], 5, v[20:21]
	s_movk_i32 s6, 0xcb
	v_add_co_u32_e32 v12, vcc, s14, v0
	v_addc_co_u32_e32 v13, vcc, v16, v1, vcc
	global_load_dwordx4 v[32:35], v[12:13], off offset:1248
	ds_read_b128 v[0:3], v152 offset:10080
	ds_read_b128 v[26:29], v152 offset:11088
	s_waitcnt vmcnt(0) lgkmcnt(1)
	v_mul_f64 v[30:31], v[2:3], v[34:35]
	v_fma_f64 v[48:49], v[0:1], v[32:33], -v[30:31]
	v_mul_f64 v[0:1], v[0:1], v[34:35]
	buffer_store_dword v32, off, s[36:39], 0 offset:844 ; 4-byte Folded Spill
	s_nop 0
	buffer_store_dword v33, off, s[36:39], 0 offset:848 ; 4-byte Folded Spill
	buffer_store_dword v34, off, s[36:39], 0 offset:852 ; 4-byte Folded Spill
	buffer_store_dword v35, off, s[36:39], 0 offset:856 ; 4-byte Folded Spill
	v_fma_f64 v[44:45], v[2:3], v[32:33], v[0:1]
	global_load_dwordx4 v[30:33], v[12:13], off offset:1264
	s_waitcnt vmcnt(0)
	v_mul_f64 v[0:1], v[24:25], v[32:33]
	v_fma_f64 v[50:51], v[22:23], v[30:31], -v[0:1]
	v_mul_f64 v[0:1], v[22:23], v[32:33]
	buffer_store_dword v30, off, s[36:39], 0 offset:860 ; 4-byte Folded Spill
	s_nop 0
	buffer_store_dword v31, off, s[36:39], 0 offset:864 ; 4-byte Folded Spill
	buffer_store_dword v32, off, s[36:39], 0 offset:868 ; 4-byte Folded Spill
	;; [unrolled: 1-line block ×3, first 2 shown]
	v_fma_f64 v[46:47], v[24:25], v[30:31], v[0:1]
	v_mul_lo_u16_sdwa v0, v6, s6 dst_sel:DWORD dst_unused:UNUSED_PAD src0_sel:BYTE_0 src1_sel:DWORD
	v_lshrrev_b16_e32 v21, 14, v0
	v_mul_lo_u16_e32 v0, 0x51, v21
	v_sub_u16_e32 v0, v6, v0
	v_and_b32_e32 v22, 0xff, v0
	v_lshlrev_b32_e32 v2, 5, v22
	global_load_dwordx4 v[30:33], v2, s[14:15] offset:1248
	s_waitcnt vmcnt(0) lgkmcnt(0)
	v_mul_f64 v[0:1], v[28:29], v[32:33]
	v_fma_f64 v[60:61], v[26:27], v[30:31], -v[0:1]
	v_mul_f64 v[0:1], v[26:27], v[32:33]
	buffer_store_dword v30, off, s[36:39], 0 offset:876 ; 4-byte Folded Spill
	s_nop 0
	buffer_store_dword v31, off, s[36:39], 0 offset:880 ; 4-byte Folded Spill
	buffer_store_dword v32, off, s[36:39], 0 offset:884 ; 4-byte Folded Spill
	;; [unrolled: 1-line block ×3, first 2 shown]
	v_fma_f64 v[56:57], v[28:29], v[30:31], v[0:1]
	global_load_dwordx4 v[29:32], v2, s[14:15] offset:1264
	ds_read_b128 v[0:3], v152 offset:20160
	ds_read_b128 v[25:28], v152 offset:21168
	s_waitcnt vmcnt(0) lgkmcnt(1)
	v_mul_f64 v[12:13], v[2:3], v[31:32]
	v_fma_f64 v[62:63], v[0:1], v[29:30], -v[12:13]
	v_mul_f64 v[0:1], v[0:1], v[31:32]
	buffer_store_dword v29, off, s[36:39], 0 offset:892 ; 4-byte Folded Spill
	s_nop 0
	buffer_store_dword v30, off, s[36:39], 0 offset:896 ; 4-byte Folded Spill
	buffer_store_dword v31, off, s[36:39], 0 offset:900 ; 4-byte Folded Spill
	;; [unrolled: 1-line block ×3, first 2 shown]
	v_fma_f64 v[58:59], v[2:3], v[29:30], v[0:1]
	v_mul_lo_u16_sdwa v0, v154, s6 dst_sel:DWORD dst_unused:UNUSED_PAD src0_sel:BYTE_0 src1_sel:DWORD
	v_lshrrev_b16_e32 v23, 14, v0
	v_mul_lo_u16_e32 v0, 0x51, v23
	v_sub_u16_e32 v0, v154, v0
	v_and_b32_e32 v24, 0xff, v0
	v_lshlrev_b32_e32 v6, 5, v24
	global_load_dwordx4 v[52:55], v6, s[14:15] offset:1248
	ds_read_b128 v[0:3], v152 offset:12096
	ds_read_b128 v[29:32], v152 offset:13104
	s_movk_i32 s6, 0x6523
	v_add_f64 v[64:65], v[56:57], -v[58:59]
	s_waitcnt vmcnt(0) lgkmcnt(1)
	v_mul_f64 v[12:13], v[2:3], v[54:55]
	v_fma_f64 v[72:73], v[0:1], v[52:53], -v[12:13]
	v_mul_f64 v[0:1], v[0:1], v[54:55]
	buffer_store_dword v52, off, s[36:39], 0 offset:908 ; 4-byte Folded Spill
	s_nop 0
	buffer_store_dword v53, off, s[36:39], 0 offset:912 ; 4-byte Folded Spill
	buffer_store_dword v54, off, s[36:39], 0 offset:916 ; 4-byte Folded Spill
	;; [unrolled: 1-line block ×3, first 2 shown]
	v_fma_f64 v[68:69], v[2:3], v[52:53], v[0:1]
	global_load_dwordx4 v[52:55], v6, s[14:15] offset:1264
	s_waitcnt vmcnt(0)
	v_mul_f64 v[0:1], v[27:28], v[54:55]
	v_fma_f64 v[74:75], v[25:26], v[52:53], -v[0:1]
	v_mul_f64 v[0:1], v[25:26], v[54:55]
	buffer_store_dword v52, off, s[36:39], 0 offset:924 ; 4-byte Folded Spill
	s_nop 0
	buffer_store_dword v53, off, s[36:39], 0 offset:928 ; 4-byte Folded Spill
	buffer_store_dword v54, off, s[36:39], 0 offset:932 ; 4-byte Folded Spill
	;; [unrolled: 1-line block ×3, first 2 shown]
	v_fma_f64 v[70:71], v[27:28], v[52:53], v[0:1]
	v_mul_u32_u24_sdwa v0, v15, s6 dst_sel:DWORD dst_unused:UNUSED_PAD src0_sel:WORD_0 src1_sel:DWORD
	v_lshrrev_b32_e32 v0, 21, v0
	v_mul_lo_u16_e32 v0, 0x51, v0
	v_sub_u16_e32 v25, v15, v0
	v_lshlrev_b16_e32 v0, 5, v25
	v_add_co_u32_e32 v0, vcc, s14, v0
	v_addc_co_u32_e32 v1, vcc, 0, v16, vcc
	global_load_dwordx4 v[52:55], v[0:1], off offset:1248
	s_waitcnt vmcnt(0) lgkmcnt(0)
	v_mul_f64 v[2:3], v[31:32], v[54:55]
	v_fma_f64 v[84:85], v[29:30], v[52:53], -v[2:3]
	v_mul_f64 v[2:3], v[29:30], v[54:55]
	buffer_store_dword v52, off, s[36:39], 0 offset:940 ; 4-byte Folded Spill
	s_nop 0
	buffer_store_dword v53, off, s[36:39], 0 offset:944 ; 4-byte Folded Spill
	buffer_store_dword v54, off, s[36:39], 0 offset:948 ; 4-byte Folded Spill
	;; [unrolled: 1-line block ×3, first 2 shown]
	v_fma_f64 v[80:81], v[31:32], v[52:53], v[2:3]
	global_load_dwordx4 v[32:35], v[0:1], off offset:1264
	ds_read_b128 v[0:3], v152 offset:22176
	ds_read_b128 v[28:31], v152 offset:23184
	s_waitcnt vmcnt(0) lgkmcnt(1)
	v_mul_f64 v[12:13], v[2:3], v[34:35]
	v_fma_f64 v[86:87], v[0:1], v[32:33], -v[12:13]
	v_mul_f64 v[0:1], v[0:1], v[34:35]
	buffer_store_dword v32, off, s[36:39], 0 offset:956 ; 4-byte Folded Spill
	s_nop 0
	buffer_store_dword v33, off, s[36:39], 0 offset:960 ; 4-byte Folded Spill
	buffer_store_dword v34, off, s[36:39], 0 offset:964 ; 4-byte Folded Spill
	;; [unrolled: 1-line block ×3, first 2 shown]
	v_fma_f64 v[82:83], v[2:3], v[32:33], v[0:1]
	v_mul_u32_u24_sdwa v0, v14, s6 dst_sel:DWORD dst_unused:UNUSED_PAD src0_sel:WORD_0 src1_sel:DWORD
	v_lshrrev_b32_e32 v26, 21, v0
	v_mul_lo_u16_e32 v0, 0x51, v26
	v_sub_u16_e32 v27, v14, v0
	v_lshlrev_b16_e32 v0, 5, v27
	v_add_co_u32_e32 v32, vcc, s14, v0
	v_addc_co_u32_e32 v33, vcc, 0, v16, vcc
	global_load_dwordx4 v[52:55], v[32:33], off offset:1248
	ds_read_b128 v[0:3], v152 offset:14112
	ds_read_b128 v[12:15], v152 offset:15120
	v_add_f64 v[88:89], v[80:81], -v[82:83]
	s_waitcnt vmcnt(0) lgkmcnt(1)
	v_mul_f64 v[34:35], v[2:3], v[54:55]
	v_fma_f64 v[96:97], v[0:1], v[52:53], -v[34:35]
	v_mul_f64 v[0:1], v[0:1], v[54:55]
	buffer_store_dword v52, off, s[36:39], 0 offset:972 ; 4-byte Folded Spill
	s_nop 0
	buffer_store_dword v53, off, s[36:39], 0 offset:976 ; 4-byte Folded Spill
	buffer_store_dword v54, off, s[36:39], 0 offset:980 ; 4-byte Folded Spill
	;; [unrolled: 1-line block ×3, first 2 shown]
	global_load_dwordx4 v[32:35], v[32:33], off offset:1264
	v_fma_f64 v[92:93], v[2:3], v[52:53], v[0:1]
	s_waitcnt vmcnt(0)
	v_mul_f64 v[0:1], v[30:31], v[34:35]
	v_fma_f64 v[98:99], v[28:29], v[32:33], -v[0:1]
	v_mul_f64 v[0:1], v[28:29], v[34:35]
	buffer_store_dword v32, off, s[36:39], 0 offset:988 ; 4-byte Folded Spill
	s_nop 0
	buffer_store_dword v33, off, s[36:39], 0 offset:992 ; 4-byte Folded Spill
	buffer_store_dword v34, off, s[36:39], 0 offset:996 ; 4-byte Folded Spill
	;; [unrolled: 1-line block ×3, first 2 shown]
	v_fma_f64 v[94:95], v[30:31], v[32:33], v[0:1]
	v_mul_u32_u24_sdwa v0, v7, s6 dst_sel:DWORD dst_unused:UNUSED_PAD src0_sel:WORD_0 src1_sel:DWORD
	v_lshrrev_b32_e32 v28, 21, v0
	v_mul_lo_u16_e32 v0, 0x51, v28
	v_sub_u16_e32 v29, v7, v0
	v_lshlrev_b16_e32 v0, 5, v29
	v_add_co_u32_e32 v0, vcc, s14, v0
	v_addc_co_u32_e32 v1, vcc, 0, v16, vcc
	global_load_dwordx4 v[30:33], v[0:1], off offset:1248
	s_waitcnt vmcnt(0) lgkmcnt(0)
	v_mul_f64 v[2:3], v[14:15], v[32:33]
	v_fma_f64 v[112:113], v[12:13], v[30:31], -v[2:3]
	v_mul_f64 v[2:3], v[12:13], v[32:33]
	buffer_store_dword v30, off, s[36:39], 0 offset:1004 ; 4-byte Folded Spill
	s_nop 0
	buffer_store_dword v31, off, s[36:39], 0 offset:1008 ; 4-byte Folded Spill
	buffer_store_dword v32, off, s[36:39], 0 offset:1012 ; 4-byte Folded Spill
	buffer_store_dword v33, off, s[36:39], 0 offset:1016 ; 4-byte Folded Spill
	v_fma_f64 v[108:109], v[14:15], v[30:31], v[2:3]
	global_load_dwordx4 v[30:33], v[0:1], off offset:1264
	ds_read_b128 v[0:3], v152 offset:24192
	ds_read_b128 v[12:15], v152 offset:25200
	s_waitcnt vmcnt(0) lgkmcnt(1)
	v_mul_f64 v[6:7], v[2:3], v[32:33]
	v_fma_f64 v[114:115], v[0:1], v[30:31], -v[6:7]
	v_mul_f64 v[0:1], v[0:1], v[32:33]
	buffer_store_dword v30, off, s[36:39], 0 offset:1020 ; 4-byte Folded Spill
	s_nop 0
	buffer_store_dword v31, off, s[36:39], 0 offset:1024 ; 4-byte Folded Spill
	buffer_store_dword v32, off, s[36:39], 0 offset:1028 ; 4-byte Folded Spill
	;; [unrolled: 1-line block ×3, first 2 shown]
	v_fma_f64 v[110:111], v[2:3], v[30:31], v[0:1]
	v_mul_u32_u24_sdwa v0, v5, s6 dst_sel:DWORD dst_unused:UNUSED_PAD src0_sel:WORD_0 src1_sel:DWORD
	v_lshrrev_b32_e32 v30, 21, v0
	v_mul_lo_u16_e32 v0, 0x51, v30
	v_sub_u16_e32 v31, v5, v0
	v_lshlrev_b16_e32 v0, 5, v31
	v_add_co_u32_e32 v5, vcc, s14, v0
	v_addc_co_u32_e32 v6, vcc, 0, v16, vcc
	global_load_dwordx4 v[52:55], v[5:6], off offset:1248
	ds_read_b128 v[0:3], v152 offset:16128
	ds_read_b128 v[32:35], v152 offset:17136
	v_add_f64 v[116:117], v[108:109], -v[110:111]
	s_waitcnt vmcnt(0) lgkmcnt(1)
	v_mul_f64 v[42:43], v[2:3], v[54:55]
	v_fma_f64 v[120:121], v[0:1], v[52:53], -v[42:43]
	v_mul_f64 v[0:1], v[0:1], v[54:55]
	buffer_store_dword v52, off, s[36:39], 0 offset:1036 ; 4-byte Folded Spill
	s_nop 0
	buffer_store_dword v53, off, s[36:39], 0 offset:1040 ; 4-byte Folded Spill
	buffer_store_dword v54, off, s[36:39], 0 offset:1044 ; 4-byte Folded Spill
	;; [unrolled: 1-line block ×3, first 2 shown]
	v_fma_f64 v[122:123], v[2:3], v[52:53], v[0:1]
	global_load_dwordx4 v[52:55], v[5:6], off offset:1264
	s_waitcnt vmcnt(0)
	v_mul_f64 v[0:1], v[14:15], v[54:55]
	v_fma_f64 v[124:125], v[12:13], v[52:53], -v[0:1]
	v_mul_f64 v[0:1], v[12:13], v[54:55]
	buffer_store_dword v52, off, s[36:39], 0 offset:1052 ; 4-byte Folded Spill
	s_nop 0
	buffer_store_dword v53, off, s[36:39], 0 offset:1056 ; 4-byte Folded Spill
	buffer_store_dword v54, off, s[36:39], 0 offset:1060 ; 4-byte Folded Spill
	;; [unrolled: 1-line block ×3, first 2 shown]
	v_add_f64 v[54:55], v[36:37], -v[40:41]
	v_fma_f64 v[12:13], v[14:15], v[52:53], v[0:1]
	v_mul_u32_u24_sdwa v0, v4, s6 dst_sel:DWORD dst_unused:UNUSED_PAD src0_sel:WORD_0 src1_sel:DWORD
	v_lshrrev_b32_e32 v0, 21, v0
	v_mul_lo_u16_e32 v0, 0x51, v0
	v_sub_u16_e32 v155, v4, v0
	v_lshlrev_b16_e32 v0, 5, v155
	v_add_co_u32_e32 v0, vcc, s14, v0
	v_addc_co_u32_e32 v1, vcc, 0, v16, vcc
	global_load_dwordx4 v[4:7], v[0:1], off offset:1248
	v_cmp_lt_u16_e32 vcc, 17, v153
	s_waitcnt vmcnt(0) lgkmcnt(0)
	v_mul_f64 v[2:3], v[34:35], v[6:7]
	v_fma_f64 v[126:127], v[32:33], v[4:5], -v[2:3]
	v_mul_f64 v[2:3], v[32:33], v[6:7]
	buffer_store_dword v4, off, s[36:39], 0 offset:1068 ; 4-byte Folded Spill
	s_nop 0
	buffer_store_dword v5, off, s[36:39], 0 offset:1072 ; 4-byte Folded Spill
	buffer_store_dword v6, off, s[36:39], 0 offset:1076 ; 4-byte Folded Spill
	;; [unrolled: 1-line block ×3, first 2 shown]
	v_fma_f64 v[14:15], v[34:35], v[4:5], v[2:3]
	global_load_dwordx4 v[32:35], v[0:1], off offset:1264
	ds_read_b128 v[0:3], v152 offset:26208
	s_waitcnt vmcnt(0) lgkmcnt(0)
	v_mul_f64 v[4:5], v[2:3], v[34:35]
	v_fma_f64 v[128:129], v[0:1], v[32:33], -v[4:5]
	v_mul_f64 v[0:1], v[0:1], v[34:35]
	buffer_store_dword v32, off, s[36:39], 0 offset:1084 ; 4-byte Folded Spill
	s_nop 0
	buffer_store_dword v33, off, s[36:39], 0 offset:1088 ; 4-byte Folded Spill
	buffer_store_dword v34, off, s[36:39], 0 offset:1092 ; 4-byte Folded Spill
	;; [unrolled: 1-line block ×3, first 2 shown]
	v_fma_f64 v[130:131], v[2:3], v[32:33], v[0:1]
	v_add_f64 v[32:33], v[17:18], v[38:39]
	ds_read_b128 v[0:3], v152
	ds_read_b128 v[4:7], v152 offset:1008
	s_waitcnt lgkmcnt(1)
	v_fma_f64 v[42:43], v[32:33], -0.5, v[0:1]
	v_add_f64 v[32:33], v[36:37], v[40:41]
	v_add_f64 v[0:1], v[0:1], v[17:18]
	v_fma_f64 v[52:53], v[32:33], -0.5, v[2:3]
	v_add_f64 v[2:3], v[2:3], v[36:37]
	v_add_f64 v[32:33], v[0:1], v[38:39]
	v_add_f64 v[0:1], v[17:18], -v[38:39]
	v_fma_f64 v[36:37], v[54:55], s[0:1], v[42:43]
	v_add_f64 v[16:17], v[44:45], -v[46:47]
	v_add_f64 v[18:19], v[56:57], v[58:59]
	v_add_f64 v[34:35], v[2:3], v[40:41]
	v_fma_f64 v[40:41], v[54:55], s[2:3], v[42:43]
	v_fma_f64 v[38:39], v[0:1], s[2:3], v[52:53]
	;; [unrolled: 1-line block ×3, first 2 shown]
	v_add_f64 v[0:1], v[48:49], v[50:51]
	v_add_f64 v[2:3], v[44:45], v[46:47]
	s_waitcnt lgkmcnt(0)
	v_fma_f64 v[0:1], v[0:1], -0.5, v[4:5]
	v_add_f64 v[4:5], v[4:5], v[48:49]
	v_fma_f64 v[2:3], v[2:3], -0.5, v[6:7]
	v_add_f64 v[6:7], v[6:7], v[44:45]
	v_fma_f64 v[52:53], v[16:17], s[2:3], v[0:1]
	v_add_f64 v[44:45], v[4:5], v[50:51]
	v_add_f64 v[4:5], v[48:49], -v[50:51]
	v_fma_f64 v[48:49], v[16:17], s[0:1], v[0:1]
	v_add_f64 v[16:17], v[60:61], v[62:63]
	v_add_f64 v[46:47], v[6:7], v[46:47]
	v_fma_f64 v[50:51], v[4:5], s[2:3], v[2:3]
	v_fma_f64 v[54:55], v[4:5], s[0:1], v[2:3]
	ds_read_b128 v[0:3], v152 offset:2016
	ds_read_b128 v[4:7], v152 offset:3024
	s_waitcnt lgkmcnt(1)
	v_fma_f64 v[16:17], v[16:17], -0.5, v[0:1]
	v_add_f64 v[0:1], v[0:1], v[60:61]
	v_fma_f64 v[18:19], v[18:19], -0.5, v[2:3]
	v_add_f64 v[2:3], v[2:3], v[56:57]
	v_add_f64 v[56:57], v[0:1], v[62:63]
	v_add_f64 v[0:1], v[60:61], -v[62:63]
	v_add_f64 v[58:59], v[2:3], v[58:59]
	v_add_f64 v[2:3], v[68:69], v[70:71]
	v_fma_f64 v[60:61], v[64:65], s[0:1], v[16:17]
	v_fma_f64 v[64:65], v[64:65], s[2:3], v[16:17]
	v_add_f64 v[16:17], v[68:69], -v[70:71]
	v_fma_f64 v[62:63], v[0:1], s[2:3], v[18:19]
	v_fma_f64 v[66:67], v[0:1], s[0:1], v[18:19]
	v_add_f64 v[0:1], v[72:73], v[74:75]
	s_waitcnt lgkmcnt(0)
	v_fma_f64 v[2:3], v[2:3], -0.5, v[6:7]
	v_add_f64 v[6:7], v[6:7], v[68:69]
	v_add_f64 v[18:19], v[80:81], v[82:83]
	v_fma_f64 v[0:1], v[0:1], -0.5, v[4:5]
	v_add_f64 v[4:5], v[4:5], v[72:73]
	v_add_f64 v[70:71], v[6:7], v[70:71]
	v_fma_f64 v[76:77], v[16:17], s[2:3], v[0:1]
	v_add_f64 v[68:69], v[4:5], v[74:75]
	v_add_f64 v[4:5], v[72:73], -v[74:75]
	v_fma_f64 v[72:73], v[16:17], s[0:1], v[0:1]
	v_add_f64 v[16:17], v[84:85], v[86:87]
	v_fma_f64 v[74:75], v[4:5], s[2:3], v[2:3]
	v_fma_f64 v[78:79], v[4:5], s[0:1], v[2:3]
	ds_read_b128 v[0:3], v152 offset:4032
	ds_read_b128 v[4:7], v152 offset:5040
	s_waitcnt lgkmcnt(1)
	v_fma_f64 v[16:17], v[16:17], -0.5, v[0:1]
	v_add_f64 v[0:1], v[0:1], v[84:85]
	v_fma_f64 v[18:19], v[18:19], -0.5, v[2:3]
	v_add_f64 v[2:3], v[2:3], v[80:81]
	v_add_f64 v[80:81], v[0:1], v[86:87]
	v_add_f64 v[0:1], v[84:85], -v[86:87]
	v_add_f64 v[82:83], v[2:3], v[82:83]
	v_add_f64 v[2:3], v[92:93], v[94:95]
	v_fma_f64 v[84:85], v[88:89], s[0:1], v[16:17]
	v_fma_f64 v[88:89], v[88:89], s[2:3], v[16:17]
	v_add_f64 v[16:17], v[92:93], -v[94:95]
	v_fma_f64 v[86:87], v[0:1], s[2:3], v[18:19]
	v_fma_f64 v[90:91], v[0:1], s[0:1], v[18:19]
	v_add_f64 v[0:1], v[96:97], v[98:99]
	s_waitcnt lgkmcnt(0)
	v_fma_f64 v[2:3], v[2:3], -0.5, v[6:7]
	v_add_f64 v[6:7], v[6:7], v[92:93]
	v_add_f64 v[18:19], v[108:109], v[110:111]
	v_fma_f64 v[0:1], v[0:1], -0.5, v[4:5]
	v_add_f64 v[4:5], v[4:5], v[96:97]
	v_add_f64 v[94:95], v[6:7], v[94:95]
	v_fma_f64 v[104:105], v[16:17], s[2:3], v[0:1]
	v_add_f64 v[92:93], v[4:5], v[98:99]
	v_add_f64 v[4:5], v[96:97], -v[98:99]
	v_fma_f64 v[96:97], v[16:17], s[0:1], v[0:1]
	v_add_f64 v[16:17], v[112:113], v[114:115]
	v_fma_f64 v[98:99], v[4:5], s[2:3], v[2:3]
	v_fma_f64 v[106:107], v[4:5], s[0:1], v[2:3]
	ds_read_b128 v[0:3], v152 offset:6048
	ds_read_b128 v[4:7], v152 offset:7056
	s_waitcnt lgkmcnt(0)
	; wave barrier
	s_waitcnt lgkmcnt(0)
	ds_write_b128 v152, v[32:35]
	ds_write_b128 v152, v[36:39] offset:1296
	ds_write_b128 v152, v[40:43] offset:2592
	v_fma_f64 v[16:17], v[16:17], -0.5, v[0:1]
	v_add_f64 v[0:1], v[0:1], v[112:113]
	v_fma_f64 v[18:19], v[18:19], -0.5, v[2:3]
	v_add_f64 v[2:3], v[2:3], v[108:109]
	v_add_f64 v[108:109], v[0:1], v[114:115]
	v_add_f64 v[0:1], v[112:113], -v[114:115]
	v_add_f64 v[110:111], v[2:3], v[110:111]
	v_fma_f64 v[112:113], v[116:117], s[0:1], v[16:17]
	v_fma_f64 v[116:117], v[116:117], s[2:3], v[16:17]
	;; [unrolled: 1-line block ×4, first 2 shown]
	v_add_f64 v[0:1], v[120:121], v[124:125]
	v_fma_f64 v[2:3], v[0:1], -0.5, v[4:5]
	v_add_f64 v[0:1], v[122:123], v[12:13]
	v_add_f64 v[4:5], v[4:5], v[120:121]
	v_fma_f64 v[16:17], v[0:1], -0.5, v[6:7]
	v_add_f64 v[0:1], v[6:7], v[122:123]
	v_add_f64 v[6:7], v[122:123], -v[12:13]
	v_add_f64 v[236:237], v[4:5], v[124:125]
	v_add_f64 v[122:123], v[14:15], -v[130:131]
	;; [unrolled: 2-line block ×3, first 2 shown]
	v_fma_f64 v[0:1], v[6:7], s[0:1], v[2:3]
	v_fma_f64 v[4:5], v[6:7], s[2:3], v[2:3]
	;; [unrolled: 1-line block ×4, first 2 shown]
	v_add_f64 v[12:13], v[126:127], v[128:129]
	v_fma_f64 v[18:19], v[12:13], -0.5, v[8:9]
	v_add_f64 v[12:13], v[14:15], v[130:131]
	v_add_f64 v[8:9], v[8:9], v[126:127]
	v_fma_f64 v[16:17], v[122:123], s[0:1], v[18:19]
	v_fma_f64 v[120:121], v[12:13], -0.5, v[10:11]
	v_add_f64 v[12:13], v[8:9], v[128:129]
	v_add_f64 v[8:9], v[126:127], -v[128:129]
	v_add_f64 v[10:11], v[10:11], v[14:15]
	v_fma_f64 v[248:249], v[122:123], s[2:3], v[18:19]
	v_fma_f64 v[18:19], v[8:9], s[2:3], v[120:121]
	;; [unrolled: 1-line block ×3, first 2 shown]
	v_mov_b32_e32 v8, 0xf3
	v_cndmask_b32_e32 v8, 0, v8, vcc
	v_add_lshl_u32 v8, v20, v8, 4
	ds_write_b128 v8, v[44:47]
	ds_write_b128 v8, v[48:51] offset:1296
	buffer_store_dword v8, off, s[36:39], 0 offset:456 ; 4-byte Folded Spill
	ds_write_b128 v8, v[52:55] offset:2592
	v_mul_u32_u24_e32 v8, 0xf3, v21
	v_add_lshl_u32 v8, v8, v22, 4
	ds_write_b128 v8, v[56:59]
	ds_write_b128 v8, v[60:63] offset:1296
	buffer_store_dword v8, off, s[36:39], 0 offset:460 ; 4-byte Folded Spill
	ds_write_b128 v8, v[64:67] offset:2592
	v_mul_u32_u24_e32 v8, 0xf3, v23
	v_add_lshl_u32 v8, v8, v24, 4
	v_add_f64 v[14:15], v[10:11], v[130:131]
	ds_write_b128 v8, v[68:71]
	ds_write_b128 v8, v[72:75] offset:1296
	buffer_store_dword v8, off, s[36:39], 0 offset:464 ; 4-byte Folded Spill
	ds_write_b128 v8, v[76:79] offset:2592
	v_lshlrev_b32_e32 v8, 4, v25
	s_movk_i32 s0, 0xf3
	ds_write_b128 v8, v[80:83] offset:11664
	ds_write_b128 v8, v[84:87] offset:12960
	buffer_store_dword v8, off, s[36:39], 0 offset:468 ; 4-byte Folded Spill
	ds_write_b128 v8, v[88:91] offset:14256
	v_mad_legacy_u16 v8, v26, s0, v27
	v_lshlrev_b32_e32 v8, 4, v8
	ds_write_b128 v8, v[92:95]
	ds_write_b128 v8, v[96:99] offset:1296
	buffer_store_dword v8, off, s[36:39], 0 offset:488 ; 4-byte Folded Spill
	ds_write_b128 v8, v[104:107] offset:2592
	v_mad_legacy_u16 v8, v28, s0, v29
	v_lshlrev_b32_e32 v8, 4, v8
	ds_write_b128 v8, v[108:111]
	;; [unrolled: 6-line block ×3, first 2 shown]
	ds_write_b128 v8, v[0:3] offset:1296
	buffer_store_dword v8, off, s[36:39], 0 offset:496 ; 4-byte Folded Spill
	ds_write_b128 v8, v[4:7] offset:2592
	v_lshlrev_b32_e32 v8, 4, v155
	ds_write_b128 v8, v[12:15] offset:23328
	ds_write_b128 v8, v[16:19] offset:24624
	buffer_store_dword v8, off, s[36:39], 0 offset:500 ; 4-byte Folded Spill
	ds_write_b128 v8, v[248:251] offset:25920
	s_waitcnt lgkmcnt(0)
	; wave barrier
	s_waitcnt lgkmcnt(0)
	ds_read_b128 v[252:255], v152
	ds_read_b128 v[244:247], v152 offset:1008
	ds_read_b128 v[76:79], v152 offset:7776
	;; [unrolled: 1-line block ×20, first 2 shown]
	s_load_dwordx2 s[2:3], s[4:5], 0x38
	v_cmp_gt_u16_e64 s[0:1], 54, v153
                                        ; implicit-def: $vgpr8_vgpr9
	s_and_saveexec_b64 s[4:5], s[0:1]
	s_cbranch_execz .LBB0_3
; %bb.2:
	ds_read_b128 v[236:239], v152 offset:3024
	ds_read_b128 v[0:3], v152 offset:6912
	;; [unrolled: 1-line block ×7, first 2 shown]
.LBB0_3:
	s_or_b64 exec, exec, s[4:5]
	v_mov_b32_e32 v93, s15
	s_movk_i32 s4, 0x60
	v_mov_b32_e32 v92, s14
	v_mad_u64_u32 v[104:105], s[4:5], v153, s4, v[92:93]
	s_movk_i32 s4, 0x17a0
	global_load_dwordx4 v[94:97], v[104:105], off offset:3888
	global_load_dwordx4 v[106:109], v[104:105], off offset:3872
	;; [unrolled: 1-line block ×4, first 2 shown]
	s_mov_b32 s22, 0x37e14327
	s_mov_b32 s16, 0x36b3c0b5
	;; [unrolled: 1-line block ×15, first 2 shown]
	s_waitcnt vmcnt(0) lgkmcnt(0)
	v_mul_f64 v[92:93], v[90:91], v[116:117]
	v_fma_f64 v[92:93], v[88:89], v[114:115], -v[92:93]
	v_mul_f64 v[88:89], v[88:89], v[116:117]
	buffer_store_dword v114, off, s[36:39], 0 offset:568 ; 4-byte Folded Spill
	s_nop 0
	buffer_store_dword v115, off, s[36:39], 0 offset:572 ; 4-byte Folded Spill
	buffer_store_dword v116, off, s[36:39], 0 offset:576 ; 4-byte Folded Spill
	buffer_store_dword v117, off, s[36:39], 0 offset:580 ; 4-byte Folded Spill
	v_fma_f64 v[90:91], v[90:91], v[114:115], v[88:89]
	v_mul_f64 v[88:89], v[78:79], v[112:113]
	v_fma_f64 v[88:89], v[76:77], v[110:111], -v[88:89]
	v_mul_f64 v[76:77], v[76:77], v[112:113]
	buffer_store_dword v110, off, s[36:39], 0 offset:552 ; 4-byte Folded Spill
	s_nop 0
	buffer_store_dword v111, off, s[36:39], 0 offset:556 ; 4-byte Folded Spill
	buffer_store_dword v112, off, s[36:39], 0 offset:560 ; 4-byte Folded Spill
	buffer_store_dword v113, off, s[36:39], 0 offset:564 ; 4-byte Folded Spill
	v_fma_f64 v[78:79], v[78:79], v[110:111], v[76:77]
	v_mul_f64 v[76:77], v[86:87], v[108:109]
	v_fma_f64 v[76:77], v[84:85], v[106:107], -v[76:77]
	v_mul_f64 v[84:85], v[84:85], v[108:109]
	buffer_store_dword v106, off, s[36:39], 0 offset:520 ; 4-byte Folded Spill
	s_nop 0
	buffer_store_dword v107, off, s[36:39], 0 offset:524 ; 4-byte Folded Spill
	buffer_store_dword v108, off, s[36:39], 0 offset:528 ; 4-byte Folded Spill
	buffer_store_dword v109, off, s[36:39], 0 offset:532 ; 4-byte Folded Spill
	v_fma_f64 v[84:85], v[86:87], v[106:107], v[84:85]
	v_mul_f64 v[86:87], v[74:75], v[96:97]
	v_fma_f64 v[86:87], v[72:73], v[94:95], -v[86:87]
	v_mul_f64 v[72:73], v[72:73], v[96:97]
	buffer_store_dword v94, off, s[36:39], 0 offset:472 ; 4-byte Folded Spill
	s_nop 0
	buffer_store_dword v95, off, s[36:39], 0 offset:476 ; 4-byte Folded Spill
	buffer_store_dword v96, off, s[36:39], 0 offset:480 ; 4-byte Folded Spill
	buffer_store_dword v97, off, s[36:39], 0 offset:484 ; 4-byte Folded Spill
	v_fma_f64 v[72:73], v[74:75], v[94:95], v[72:73]
	global_load_dwordx4 v[94:97], v[104:105], off offset:3920
	global_load_dwordx4 v[106:109], v[104:105], off offset:3904
	s_waitcnt vmcnt(0)
	v_mul_f64 v[74:75], v[82:83], v[108:109]
	v_fma_f64 v[74:75], v[80:81], v[106:107], -v[74:75]
	v_mul_f64 v[80:81], v[80:81], v[108:109]
	buffer_store_dword v106, off, s[36:39], 0 offset:536 ; 4-byte Folded Spill
	s_nop 0
	buffer_store_dword v107, off, s[36:39], 0 offset:540 ; 4-byte Folded Spill
	buffer_store_dword v108, off, s[36:39], 0 offset:544 ; 4-byte Folded Spill
	;; [unrolled: 1-line block ×3, first 2 shown]
	v_fma_f64 v[80:81], v[82:83], v[106:107], v[80:81]
	v_mul_f64 v[82:83], v[70:71], v[96:97]
	v_fma_f64 v[82:83], v[68:69], v[94:95], -v[82:83]
	v_mul_f64 v[68:69], v[68:69], v[96:97]
	buffer_store_dword v94, off, s[36:39], 0 offset:504 ; 4-byte Folded Spill
	s_nop 0
	buffer_store_dword v95, off, s[36:39], 0 offset:508 ; 4-byte Folded Spill
	buffer_store_dword v96, off, s[36:39], 0 offset:512 ; 4-byte Folded Spill
	;; [unrolled: 1-line block ×3, first 2 shown]
	v_fma_f64 v[70:71], v[70:71], v[94:95], v[68:69]
	v_add_co_u32_e32 v94, vcc, s4, v104
	v_addc_co_u32_e32 v95, vcc, 0, v105, vcc
	global_load_dwordx4 v[96:99], v[94:95], off offset:3888
	global_load_dwordx4 v[106:109], v[94:95], off offset:3872
	global_load_dwordx4 v[110:113], v[94:95], off offset:3856
	global_load_dwordx4 v[114:117], v[94:95], off offset:3840
	s_movk_i32 s4, 0x2f40
	s_waitcnt vmcnt(0)
	v_mul_f64 v[68:69], v[66:67], v[116:117]
	v_fma_f64 v[68:69], v[64:65], v[114:115], -v[68:69]
	v_mul_f64 v[64:65], v[64:65], v[116:117]
	buffer_store_dword v114, off, s[36:39], 0 offset:648 ; 4-byte Folded Spill
	s_nop 0
	buffer_store_dword v115, off, s[36:39], 0 offset:652 ; 4-byte Folded Spill
	buffer_store_dword v116, off, s[36:39], 0 offset:656 ; 4-byte Folded Spill
	buffer_store_dword v117, off, s[36:39], 0 offset:660 ; 4-byte Folded Spill
	v_fma_f64 v[66:67], v[66:67], v[114:115], v[64:65]
	v_mul_f64 v[64:65], v[58:59], v[112:113]
	v_fma_f64 v[64:65], v[56:57], v[110:111], -v[64:65]
	v_mul_f64 v[56:57], v[56:57], v[112:113]
	buffer_store_dword v110, off, s[36:39], 0 offset:632 ; 4-byte Folded Spill
	s_nop 0
	buffer_store_dword v111, off, s[36:39], 0 offset:636 ; 4-byte Folded Spill
	buffer_store_dword v112, off, s[36:39], 0 offset:640 ; 4-byte Folded Spill
	buffer_store_dword v113, off, s[36:39], 0 offset:644 ; 4-byte Folded Spill
	v_fma_f64 v[58:59], v[58:59], v[110:111], v[56:57]
	;; [unrolled: 9-line block ×4, first 2 shown]
	global_load_dwordx4 v[106:109], v[94:95], off offset:3920
	s_nop 0
	global_load_dwordx4 v[94:97], v[94:95], off offset:3904
	s_waitcnt vmcnt(0)
	v_mul_f64 v[54:55], v[50:51], v[96:97]
	v_fma_f64 v[54:55], v[48:49], v[94:95], -v[54:55]
	v_mul_f64 v[48:49], v[48:49], v[96:97]
	buffer_store_dword v94, off, s[36:39], 0 offset:696 ; 4-byte Folded Spill
	s_nop 0
	buffer_store_dword v95, off, s[36:39], 0 offset:700 ; 4-byte Folded Spill
	buffer_store_dword v96, off, s[36:39], 0 offset:704 ; 4-byte Folded Spill
	;; [unrolled: 1-line block ×3, first 2 shown]
	v_fma_f64 v[94:95], v[50:51], v[94:95], v[48:49]
	v_mul_f64 v[48:49], v[46:47], v[108:109]
	v_fma_f64 v[96:97], v[44:45], v[106:107], -v[48:49]
	v_mul_f64 v[44:45], v[44:45], v[108:109]
	buffer_store_dword v106, off, s[36:39], 0 offset:616 ; 4-byte Folded Spill
	s_nop 0
	buffer_store_dword v107, off, s[36:39], 0 offset:620 ; 4-byte Folded Spill
	buffer_store_dword v108, off, s[36:39], 0 offset:624 ; 4-byte Folded Spill
	;; [unrolled: 1-line block ×3, first 2 shown]
	v_fma_f64 v[98:99], v[46:47], v[106:107], v[44:45]
	v_add_co_u32_e32 v46, vcc, s4, v104
	v_addc_co_u32_e32 v47, vcc, 0, v105, vcc
	global_load_dwordx4 v[48:51], v[46:47], off offset:3888
	global_load_dwordx4 v[104:107], v[46:47], off offset:3872
	;; [unrolled: 1-line block ×4, first 2 shown]
	s_mov_b32 s4, 0x429ad128
	s_mov_b32 s5, 0x3febfeb5
	s_waitcnt vmcnt(0)
	v_mul_f64 v[44:45], v[42:43], v[114:115]
	v_fma_f64 v[44:45], v[40:41], v[112:113], -v[44:45]
	v_mul_f64 v[40:41], v[40:41], v[114:115]
	buffer_store_dword v112, off, s[36:39], 0 offset:816 ; 4-byte Folded Spill
	s_nop 0
	buffer_store_dword v113, off, s[36:39], 0 offset:820 ; 4-byte Folded Spill
	buffer_store_dword v114, off, s[36:39], 0 offset:824 ; 4-byte Folded Spill
	buffer_store_dword v115, off, s[36:39], 0 offset:828 ; 4-byte Folded Spill
	v_fma_f64 v[42:43], v[42:43], v[112:113], v[40:41]
	v_mul_f64 v[40:41], v[38:39], v[110:111]
	v_fma_f64 v[40:41], v[36:37], v[108:109], -v[40:41]
	v_mul_f64 v[36:37], v[36:37], v[110:111]
	buffer_store_dword v108, off, s[36:39], 0 offset:728 ; 4-byte Folded Spill
	s_nop 0
	buffer_store_dword v109, off, s[36:39], 0 offset:732 ; 4-byte Folded Spill
	buffer_store_dword v110, off, s[36:39], 0 offset:736 ; 4-byte Folded Spill
	buffer_store_dword v111, off, s[36:39], 0 offset:740 ; 4-byte Folded Spill
	v_fma_f64 v[38:39], v[38:39], v[108:109], v[36:37]
	;; [unrolled: 9-line block ×4, first 2 shown]
	global_load_dwordx4 v[104:107], v[46:47], off offset:3920
	s_nop 0
	global_load_dwordx4 v[46:49], v[46:47], off offset:3904
	s_waitcnt vmcnt(0)
	v_mul_f64 v[30:31], v[26:27], v[48:49]
	v_fma_f64 v[30:31], v[24:25], v[46:47], -v[30:31]
	v_mul_f64 v[24:25], v[24:25], v[48:49]
	buffer_store_dword v46, off, s[36:39], 0 offset:744 ; 4-byte Folded Spill
	s_nop 0
	buffer_store_dword v47, off, s[36:39], 0 offset:748 ; 4-byte Folded Spill
	buffer_store_dword v48, off, s[36:39], 0 offset:752 ; 4-byte Folded Spill
	;; [unrolled: 1-line block ×3, first 2 shown]
	v_fma_f64 v[24:25], v[26:27], v[46:47], v[24:25]
	v_mul_f64 v[26:27], v[22:23], v[106:107]
	v_fma_f64 v[48:49], v[20:21], v[104:105], -v[26:27]
	v_mul_f64 v[20:21], v[20:21], v[106:107]
	buffer_store_dword v104, off, s[36:39], 0 offset:712 ; 4-byte Folded Spill
	s_nop 0
	buffer_store_dword v105, off, s[36:39], 0 offset:716 ; 4-byte Folded Spill
	buffer_store_dword v106, off, s[36:39], 0 offset:720 ; 4-byte Folded Spill
	;; [unrolled: 1-line block ×3, first 2 shown]
	v_fma_f64 v[50:51], v[22:23], v[104:105], v[20:21]
	v_subrev_u32_e32 v20, 54, v153
	v_cndmask_b32_e64 v20, v20, v154, s[0:1]
	v_mul_hi_i32_i24_e32 v21, 0x60, v20
	v_mul_i32_i24_e32 v20, 0x60, v20
	v_add_co_u32_e32 v104, vcc, s14, v20
	v_mov_b32_e32 v20, s15
	v_addc_co_u32_e32 v105, vcc, v20, v21, vcc
	global_load_dwordx4 v[106:109], v[104:105], off offset:3888
	global_load_dwordx4 v[110:113], v[104:105], off offset:3872
	;; [unrolled: 1-line block ×4, first 2 shown]
	s_mov_b32 s14, 0x5476071b
	s_mov_b32 s15, 0x3fe77f67
	;; [unrolled: 1-line block ×3, first 2 shown]
	s_waitcnt vmcnt(0)
	v_mul_f64 v[20:21], v[2:3], v[120:121]
	v_fma_f64 v[26:27], v[0:1], v[118:119], -v[20:21]
	v_mul_f64 v[0:1], v[0:1], v[120:121]
	buffer_store_dword v118, off, s[36:39], 0 offset:1704 ; 4-byte Folded Spill
	s_nop 0
	buffer_store_dword v119, off, s[36:39], 0 offset:1708 ; 4-byte Folded Spill
	buffer_store_dword v120, off, s[36:39], 0 offset:1712 ; 4-byte Folded Spill
	;; [unrolled: 1-line block ×3, first 2 shown]
	v_fma_f64 v[46:47], v[2:3], v[118:119], v[0:1]
	v_mul_f64 v[0:1], v[6:7], v[116:117]
	v_add_f64 v[2:3], v[90:91], v[70:71]
	v_add_f64 v[70:71], v[90:91], -v[70:71]
	v_add_f64 v[90:91], v[78:79], v[80:81]
	v_add_f64 v[78:79], v[78:79], -v[80:81]
	;; [unrolled: 2-line block ×3, first 2 shown]
	v_fma_f64 v[20:21], v[4:5], v[114:115], -v[0:1]
	v_mul_f64 v[0:1], v[4:5], v[116:117]
	buffer_store_dword v114, off, s[36:39], 0 offset:1688 ; 4-byte Folded Spill
	s_nop 0
	buffer_store_dword v115, off, s[36:39], 0 offset:1692 ; 4-byte Folded Spill
	buffer_store_dword v116, off, s[36:39], 0 offset:1696 ; 4-byte Folded Spill
	;; [unrolled: 1-line block ×3, first 2 shown]
	v_add_f64 v[86:87], v[90:91], v[2:3]
	v_fma_f64 v[22:23], v[6:7], v[114:115], v[0:1]
	v_mul_f64 v[0:1], v[14:15], v[112:113]
	v_fma_f64 v[4:5], v[12:13], v[110:111], -v[0:1]
	v_mul_f64 v[0:1], v[12:13], v[112:113]
	buffer_store_dword v110, off, s[36:39], 0 offset:1672 ; 4-byte Folded Spill
	s_nop 0
	buffer_store_dword v111, off, s[36:39], 0 offset:1676 ; 4-byte Folded Spill
	buffer_store_dword v112, off, s[36:39], 0 offset:1680 ; 4-byte Folded Spill
	;; [unrolled: 1-line block ×3, first 2 shown]
	v_fma_f64 v[6:7], v[14:15], v[110:111], v[0:1]
	v_mul_f64 v[0:1], v[18:19], v[108:109]
	v_fma_f64 v[12:13], v[16:17], v[106:107], -v[0:1]
	v_mul_f64 v[0:1], v[16:17], v[108:109]
	buffer_store_dword v106, off, s[36:39], 0 offset:1656 ; 4-byte Folded Spill
	s_nop 0
	buffer_store_dword v107, off, s[36:39], 0 offset:1660 ; 4-byte Folded Spill
	buffer_store_dword v108, off, s[36:39], 0 offset:1664 ; 4-byte Folded Spill
	;; [unrolled: 1-line block ×3, first 2 shown]
	v_fma_f64 v[14:15], v[18:19], v[106:107], v[0:1]
	global_load_dwordx4 v[106:109], v[104:105], off offset:3920
	global_load_dwordx4 v[110:113], v[104:105], off offset:3904
	v_add_f64 v[104:105], v[90:91], -v[2:3]
	s_waitcnt vmcnt(0)
	v_mul_f64 v[0:1], v[250:251], v[112:113]
	v_fma_f64 v[16:17], v[248:249], v[110:111], -v[0:1]
	v_mul_f64 v[0:1], v[248:249], v[112:113]
	buffer_store_dword v110, off, s[36:39], 0 offset:1736 ; 4-byte Folded Spill
	s_nop 0
	buffer_store_dword v111, off, s[36:39], 0 offset:1740 ; 4-byte Folded Spill
	buffer_store_dword v112, off, s[36:39], 0 offset:1744 ; 4-byte Folded Spill
	;; [unrolled: 1-line block ×3, first 2 shown]
	v_fma_f64 v[18:19], v[250:251], v[110:111], v[0:1]
	v_mul_f64 v[0:1], v[10:11], v[108:109]
	v_fma_f64 v[128:129], v[8:9], v[106:107], -v[0:1]
	v_mul_f64 v[0:1], v[8:9], v[108:109]
	buffer_store_dword v106, off, s[36:39], 0 offset:1720 ; 4-byte Folded Spill
	s_nop 0
	buffer_store_dword v107, off, s[36:39], 0 offset:1724 ; 4-byte Folded Spill
	buffer_store_dword v108, off, s[36:39], 0 offset:1728 ; 4-byte Folded Spill
	;; [unrolled: 1-line block ×3, first 2 shown]
	v_add_f64 v[8:9], v[92:93], -v[82:83]
	v_fma_f64 v[10:11], v[10:11], v[106:107], v[0:1]
	v_add_f64 v[0:1], v[92:93], v[82:83]
	v_add_f64 v[82:83], v[88:89], v[74:75]
	v_add_f64 v[74:75], v[88:89], -v[74:75]
	v_add_f64 v[88:89], v[84:85], v[72:73]
	v_add_f64 v[72:73], v[72:73], -v[84:85]
	v_add_f64 v[106:107], v[0:1], -v[80:81]
	v_add_f64 v[84:85], v[82:83], v[0:1]
	v_add_f64 v[92:93], v[82:83], -v[0:1]
	v_add_f64 v[108:109], v[2:3], -v[88:89]
	;; [unrolled: 1-line block ×4, first 2 shown]
	v_add_f64 v[0:1], v[76:77], v[74:75]
	v_add_f64 v[2:3], v[72:73], v[78:79]
	v_add_f64 v[110:111], v[76:77], -v[74:75]
	v_add_f64 v[74:75], v[74:75], -v[8:9]
	v_add_f64 v[80:81], v[80:81], v[84:85]
	v_add_f64 v[84:85], v[88:89], v[86:87]
	v_add_f64 v[112:113], v[72:73], -v[78:79]
	v_add_f64 v[76:77], v[8:9], -v[76:77]
	;; [unrolled: 1-line block ×4, first 2 shown]
	v_add_f64 v[70:71], v[2:3], v[70:71]
	v_mul_f64 v[86:87], v[106:107], s[22:23]
	v_mul_f64 v[88:89], v[108:109], s[22:23]
	v_add_f64 v[2:3], v[254:255], v[84:85]
	v_mul_f64 v[106:107], v[82:83], s[16:17]
	v_mul_f64 v[108:109], v[90:91], s[16:17]
	;; [unrolled: 1-line block ×4, first 2 shown]
	v_add_f64 v[8:9], v[0:1], v[8:9]
	v_add_f64 v[0:1], v[252:253], v[80:81]
	v_mul_f64 v[112:113], v[112:113], s[6:7]
	v_fma_f64 v[84:85], v[84:85], s[24:25], v[2:3]
	v_fma_f64 v[82:83], v[82:83], s[16:17], v[86:87]
	;; [unrolled: 1-line block ×3, first 2 shown]
	v_fma_f64 v[106:107], v[92:93], s[14:15], -v[106:107]
	v_fma_f64 v[108:109], v[104:105], s[14:15], -v[108:109]
	;; [unrolled: 1-line block ×4, first 2 shown]
	v_fma_f64 v[92:93], v[76:77], s[26:27], v[110:111]
	v_fma_f64 v[74:75], v[74:75], s[4:5], -v[110:111]
	v_fma_f64 v[76:77], v[76:77], s[28:29], -v[114:115]
	v_mul_f64 v[116:117], v[78:79], s[4:5]
	v_fma_f64 v[80:81], v[80:81], s[24:25], v[0:1]
	v_fma_f64 v[104:105], v[72:73], s[26:27], v[112:113]
	v_fma_f64 v[78:79], v[78:79], s[4:5], -v[112:113]
	v_add_f64 v[112:113], v[90:91], v[84:85]
	v_add_f64 v[90:91], v[108:109], v[84:85]
	;; [unrolled: 1-line block ×3, first 2 shown]
	v_fma_f64 v[92:93], v[8:9], s[20:21], v[92:93]
	v_fma_f64 v[84:85], v[8:9], s[20:21], v[74:75]
	;; [unrolled: 1-line block ×3, first 2 shown]
	v_fma_f64 v[72:73], v[72:73], s[28:29], -v[116:117]
	v_add_f64 v[110:111], v[82:83], v[80:81]
	v_fma_f64 v[104:105], v[70:71], s[20:21], v[104:105]
	v_add_f64 v[82:83], v[106:107], v[80:81]
	v_add_f64 v[86:87], v[86:87], v[80:81]
	v_fma_f64 v[106:107], v[70:71], s[20:21], v[78:79]
	v_add_f64 v[80:81], v[84:85], v[90:91]
	v_add_f64 v[76:77], v[88:89], -v[8:9]
	v_add_f64 v[88:89], v[8:9], v[88:89]
	v_add_f64 v[8:9], v[68:69], v[96:97]
	v_add_f64 v[68:69], v[68:69], -v[96:97]
	v_add_f64 v[96:97], v[64:65], v[54:55]
	v_fma_f64 v[108:109], v[70:71], s[20:21], v[72:73]
	v_add_f64 v[70:71], v[104:105], v[110:111]
	v_add_f64 v[84:85], v[90:91], -v[84:85]
	v_add_f64 v[90:91], v[110:111], -v[104:105]
	v_add_f64 v[104:105], v[66:67], v[98:99]
	v_add_f64 v[66:67], v[66:67], -v[98:99]
	v_add_f64 v[98:99], v[58:59], v[94:95]
	v_add_f64 v[54:55], v[64:65], -v[54:55]
	v_add_f64 v[58:59], v[58:59], -v[94:95]
	v_add_f64 v[64:65], v[56:57], v[62:63]
	v_add_f64 v[94:95], v[60:61], v[52:53]
	v_add_f64 v[56:57], v[62:63], -v[56:57]
	v_add_f64 v[52:53], v[52:53], -v[60:61]
	v_add_f64 v[60:61], v[96:97], v[8:9]
	v_add_f64 v[72:73], v[112:113], -v[92:93]
	v_add_f64 v[74:75], v[108:109], v[86:87]
	;; [unrolled: 2-line block ×4, first 2 shown]
	v_add_f64 v[62:63], v[98:99], v[104:105]
	v_add_f64 v[106:107], v[96:97], -v[8:9]
	v_add_f64 v[108:109], v[98:99], -v[104:105]
	;; [unrolled: 1-line block ×5, first 2 shown]
	v_add_f64 v[110:111], v[56:57], v[54:55]
	v_add_f64 v[112:113], v[52:53], v[58:59]
	v_add_f64 v[116:117], v[52:53], -v[58:59]
	v_add_f64 v[120:121], v[58:59], -v[66:67]
	v_add_f64 v[60:61], v[64:65], v[60:61]
	v_add_f64 v[96:97], v[64:65], -v[96:97]
	v_add_f64 v[114:115], v[56:57], -v[54:55]
	;; [unrolled: 1-line block ×5, first 2 shown]
	v_add_f64 v[62:63], v[94:95], v[62:63]
	v_add_f64 v[64:65], v[110:111], v[68:69]
	;; [unrolled: 1-line block ×4, first 2 shown]
	v_mul_f64 v[8:9], v[8:9], s[22:23]
	v_mul_f64 v[68:69], v[104:105], s[22:23]
	;; [unrolled: 1-line block ×5, first 2 shown]
	v_add_f64 v[58:59], v[246:247], v[62:63]
	v_mul_f64 v[94:95], v[96:97], s[16:17]
	v_mul_f64 v[110:111], v[114:115], s[6:7]
	;; [unrolled: 1-line block ×3, first 2 shown]
	v_fma_f64 v[60:61], v[60:61], s[24:25], v[56:57]
	v_fma_f64 v[96:97], v[96:97], s[16:17], v[8:9]
	;; [unrolled: 1-line block ×3, first 2 shown]
	v_fma_f64 v[104:105], v[108:109], s[14:15], -v[104:105]
	v_fma_f64 v[8:9], v[106:107], s[18:19], -v[8:9]
	;; [unrolled: 1-line block ×3, first 2 shown]
	v_fma_f64 v[108:109], v[52:53], s[26:27], v[112:113]
	v_fma_f64 v[52:53], v[52:53], s[28:29], -v[116:117]
	v_fma_f64 v[62:63], v[62:63], s[24:25], v[58:59]
	v_fma_f64 v[94:95], v[106:107], s[14:15], -v[94:95]
	;; [unrolled: 2-line block ×3, first 2 shown]
	v_fma_f64 v[110:111], v[120:121], s[4:5], -v[112:113]
	v_fma_f64 v[112:113], v[118:119], s[28:29], -v[114:115]
	v_add_f64 v[8:9], v[8:9], v[60:61]
	v_fma_f64 v[52:53], v[66:67], s[20:21], v[52:53]
	v_add_f64 v[118:119], v[104:105], v[62:63]
	v_fma_f64 v[122:123], v[66:67], s[20:21], v[108:109]
	v_fma_f64 v[120:121], v[64:65], s[20:21], v[106:107]
	;; [unrolled: 1-line block ×5, first 2 shown]
	v_add_f64 v[114:115], v[96:97], v[60:61]
	v_add_f64 v[64:65], v[52:53], v[8:9]
	v_add_f64 v[108:109], v[8:9], -v[52:53]
	v_add_f64 v[8:9], v[44:45], v[48:49]
	v_add_f64 v[52:53], v[42:43], v[50:51]
	v_add_f64 v[44:45], v[44:45], -v[48:49]
	v_add_f64 v[42:43], v[42:43], -v[50:51]
	v_add_f64 v[48:49], v[40:41], v[30:31]
	v_add_f64 v[50:51], v[38:39], v[24:25]
	;; [unrolled: 1-line block ×5, first 2 shown]
	v_add_f64 v[30:31], v[40:41], -v[30:31]
	v_add_f64 v[24:25], v[38:39], -v[24:25]
	v_add_f64 v[38:39], v[36:37], v[34:35]
	v_add_f64 v[40:41], v[32:33], v[28:29]
	v_add_f64 v[34:35], v[34:35], -v[36:37]
	v_add_f64 v[28:29], v[28:29], -v[32:33]
	v_add_f64 v[32:33], v[48:49], v[8:9]
	v_add_f64 v[36:37], v[50:51], v[52:53]
	;; [unrolled: 1-line block ×3, first 2 shown]
	v_add_f64 v[62:63], v[98:99], -v[120:121]
	v_add_f64 v[66:67], v[68:69], -v[110:111]
	;; [unrolled: 1-line block ×3, first 2 shown]
	v_add_f64 v[96:97], v[54:55], v[118:119]
	v_add_f64 v[104:105], v[104:105], v[116:117]
	v_add_f64 v[106:107], v[118:119], -v[54:55]
	v_add_f64 v[110:111], v[110:111], v[68:69]
	v_add_f64 v[112:113], v[114:115], -v[122:123]
	;; [unrolled: 2-line block ×3, first 2 shown]
	v_add_f64 v[68:69], v[50:51], -v[52:53]
	v_add_f64 v[8:9], v[8:9], -v[38:39]
	;; [unrolled: 1-line block ×5, first 2 shown]
	v_add_f64 v[98:99], v[34:35], v[30:31]
	v_add_f64 v[116:117], v[28:29], v[24:25]
	v_add_f64 v[120:121], v[34:35], -v[30:31]
	v_add_f64 v[122:123], v[28:29], -v[24:25]
	;; [unrolled: 1-line block ×3, first 2 shown]
	v_add_f64 v[32:33], v[38:39], v[32:33]
	v_add_f64 v[36:37], v[40:41], v[36:37]
	v_add_f64 v[34:35], v[44:45], -v[34:35]
	v_add_f64 v[28:29], v[42:43], -v[28:29]
	;; [unrolled: 1-line block ×3, first 2 shown]
	v_add_f64 v[38:39], v[98:99], v[44:45]
	v_add_f64 v[40:41], v[116:117], v[42:43]
	v_mul_f64 v[8:9], v[8:9], s[22:23]
	v_add_f64 v[116:117], v[240:241], v[32:33]
	v_add_f64 v[118:119], v[242:243], v[36:37]
	v_mul_f64 v[42:43], v[52:53], s[22:23]
	v_mul_f64 v[44:45], v[48:49], s[16:17]
	;; [unrolled: 1-line block ×7, first 2 shown]
	v_fma_f64 v[32:33], v[32:33], s[24:25], v[116:117]
	v_fma_f64 v[36:37], v[36:37], s[24:25], v[118:119]
	;; [unrolled: 1-line block ×4, first 2 shown]
	v_fma_f64 v[44:45], v[54:55], s[14:15], -v[44:45]
	v_fma_f64 v[52:53], v[68:69], s[14:15], -v[52:53]
	;; [unrolled: 1-line block ×4, first 2 shown]
	v_fma_f64 v[68:69], v[28:29], s[26:27], v[120:121]
	v_fma_f64 v[30:31], v[30:31], s[4:5], -v[98:99]
	v_fma_f64 v[24:25], v[24:25], s[4:5], -v[120:121]
	;; [unrolled: 1-line block ×3, first 2 shown]
	v_fma_f64 v[54:55], v[34:35], s[26:27], v[98:99]
	v_fma_f64 v[34:35], v[34:35], s[28:29], -v[122:123]
	v_add_f64 v[44:45], v[44:45], v[32:33]
	v_add_f64 v[52:53], v[52:53], v[36:37]
	;; [unrolled: 1-line block ×3, first 2 shown]
	v_fma_f64 v[30:31], v[38:39], s[20:21], v[30:31]
	v_fma_f64 v[24:25], v[40:41], s[20:21], v[24:25]
	;; [unrolled: 1-line block ×3, first 2 shown]
	v_add_f64 v[48:49], v[48:49], v[32:33]
	v_add_f64 v[50:51], v[50:51], v[36:37]
	;; [unrolled: 1-line block ×3, first 2 shown]
	v_fma_f64 v[36:37], v[38:39], s[20:21], v[54:55]
	v_fma_f64 v[34:35], v[38:39], s[20:21], v[34:35]
	v_add_f64 v[250:251], v[30:31], v[52:53]
	v_add_f64 v[248:249], v[44:45], -v[24:25]
	v_add_f64 v[244:245], v[28:29], v[8:9]
	v_add_f64 v[252:253], v[24:25], v[44:45]
	v_add_f64 v[254:255], v[52:53], -v[30:31]
	v_add_f64 v[120:121], v[8:9], -v[28:29]
	v_add_f64 v[8:9], v[26:27], v[128:129]
	v_add_f64 v[28:29], v[46:47], v[10:11]
	;; [unrolled: 1-line block ×4, first 2 shown]
	v_fma_f64 v[42:43], v[40:41], s[20:21], v[68:69]
	v_add_f64 v[242:243], v[50:51], -v[36:37]
	v_add_f64 v[246:247], v[32:33], -v[34:35]
	v_add_f64 v[122:123], v[34:35], v[32:33]
	v_add_f64 v[126:127], v[36:37], v[50:51]
	v_add_f64 v[26:27], v[26:27], -v[128:129]
	v_add_f64 v[10:11], v[46:47], -v[10:11]
	;; [unrolled: 1-line block ×4, first 2 shown]
	v_add_f64 v[32:33], v[4:5], v[12:13]
	v_add_f64 v[34:35], v[6:7], v[14:15]
	v_add_f64 v[4:5], v[12:13], -v[4:5]
	v_add_f64 v[6:7], v[14:15], -v[6:7]
	v_add_f64 v[36:37], v[24:25], v[8:9]
	v_add_f64 v[38:39], v[30:31], v[28:29]
	v_add_f64 v[240:241], v[42:43], v[48:49]
	v_add_f64 v[124:125], v[48:49], -v[42:43]
	v_add_f64 v[40:41], v[8:9], -v[32:33]
	;; [unrolled: 1-line block ×4, first 2 shown]
	v_add_f64 v[46:47], v[6:7], v[16:17]
	v_add_f64 v[48:49], v[26:27], -v[4:5]
	v_add_f64 v[68:69], v[10:11], -v[6:7]
	v_add_f64 v[36:37], v[32:33], v[36:37]
	v_add_f64 v[34:35], v[34:35], v[38:39]
	v_add_f64 v[14:15], v[32:33], -v[24:25]
	v_add_f64 v[44:45], v[4:5], v[20:21]
	v_add_f64 v[22:23], v[4:5], -v[20:21]
	v_add_f64 v[12:13], v[6:7], -v[16:17]
	v_add_f64 v[32:33], v[46:47], v[10:11]
	v_mul_f64 v[40:41], v[40:41], s[22:23]
	v_add_f64 v[4:5], v[236:237], v[36:37]
	v_add_f64 v[6:7], v[238:239], v[34:35]
	v_mul_f64 v[52:53], v[42:43], s[22:23]
	v_mul_f64 v[54:55], v[48:49], s[26:27]
	;; [unrolled: 1-line block ×3, first 2 shown]
	v_add_f64 v[50:51], v[44:45], v[26:27]
	v_fma_f64 v[36:37], v[36:37], s[24:25], v[4:5]
	v_fma_f64 v[48:49], v[34:35], s[24:25], v[6:7]
	;; [unrolled: 1-line block ×6, first 2 shown]
	v_add_f64 v[34:35], v[34:35], v[36:37]
	v_add_f64 v[38:39], v[38:39], v[48:49]
	v_fma_f64 v[42:43], v[50:51], s[20:21], v[42:43]
	v_fma_f64 v[44:45], v[32:33], s[20:21], v[44:45]
	v_add_f64 v[130:131], v[42:43], v[38:39]
	v_add_f64 v[128:129], v[34:35], -v[44:45]
	buffer_store_dword v128, off, s[36:39], 0 ; 4-byte Folded Spill
	s_nop 0
	buffer_store_dword v129, off, s[36:39], 0 offset:4 ; 4-byte Folded Spill
	buffer_store_dword v130, off, s[36:39], 0 offset:8 ; 4-byte Folded Spill
	;; [unrolled: 1-line block ×3, first 2 shown]
	ds_write_b128 v152, v[0:3]
	ds_write_b128 v152, v[70:73] offset:3888
	ds_write_b128 v152, v[74:77] offset:7776
	;; [unrolled: 1-line block ×20, first 2 shown]
	s_and_saveexec_b64 s[22:23], s[0:1]
	s_cbranch_execz .LBB0_5
; %bb.4:
	v_add_f64 v[0:1], v[20:21], -v[26:27]
	v_add_f64 v[2:3], v[30:31], -v[28:29]
	v_mul_f64 v[14:15], v[14:15], s[16:17]
	v_mul_f64 v[18:19], v[18:19], s[16:17]
	s_mov_b32 s17, 0xbfebfeb5
	s_mov_b32 s16, s4
	v_mul_f64 v[20:21], v[50:51], s[20:21]
	v_add_f64 v[8:9], v[24:25], -v[8:9]
	v_fma_f64 v[26:27], v[0:1], s[16:17], -v[54:55]
	v_add_f64 v[10:11], v[16:17], -v[10:11]
	v_mul_f64 v[22:23], v[22:23], s[6:7]
	v_mul_f64 v[12:13], v[12:13], s[6:7]
	v_fma_f64 v[28:29], v[2:3], s[18:19], -v[52:53]
	v_mul_f64 v[16:17], v[32:33], s[20:21]
	v_fma_f64 v[2:3], v[2:3], s[14:15], -v[18:19]
	v_fma_f64 v[24:25], v[8:9], s[18:19], -v[40:41]
	v_add_f64 v[18:19], v[20:21], v[26:27]
	v_fma_f64 v[26:27], v[10:11], s[16:17], -v[46:47]
	v_fma_f64 v[0:1], v[0:1], s[4:5], -v[22:23]
	;; [unrolled: 1-line block ×4, first 2 shown]
	v_add_f64 v[22:23], v[28:29], v[48:49]
	v_add_f64 v[12:13], v[2:3], v[48:49]
	;; [unrolled: 1-line block ×8, first 2 shown]
	v_add_f64 v[18:19], v[22:23], -v[18:19]
	v_add_f64 v[22:23], v[38:39], -v[42:43]
	v_add_f64 v[20:21], v[44:45], v[34:35]
	v_add_f64 v[16:17], v[26:27], v[24:25]
	v_add_f64 v[10:11], v[12:13], -v[0:1]
	v_add_f64 v[14:15], v[0:1], v[12:13]
	v_add_f64 v[12:13], v[8:9], -v[28:29]
	;; [unrolled: 2-line block ×3, first 2 shown]
	ds_write_b128 v152, v[4:7] offset:3024
	ds_write_b128 v152, v[20:23] offset:6912
	;; [unrolled: 1-line block ×6, first 2 shown]
	buffer_load_dword v0, off, s[36:39], 0  ; 4-byte Folded Reload
	buffer_load_dword v1, off, s[36:39], 0 offset:4 ; 4-byte Folded Reload
	buffer_load_dword v2, off, s[36:39], 0 offset:8 ; 4-byte Folded Reload
	;; [unrolled: 1-line block ×3, first 2 shown]
	s_waitcnt vmcnt(0)
	ds_write_b128 v152, v[0:3] offset:26352
.LBB0_5:
	s_or_b64 exec, exec, s[22:23]
	v_lshlrev_b32_e32 v0, 4, v153
	v_add_co_u32_e32 v8, vcc, s12, v0
	v_mov_b32_e32 v0, s13
	v_addc_co_u32_e32 v9, vcc, 0, v0, vcc
	s_movk_i32 s4, 0x6a50
	v_add_co_u32_e32 v18, vcc, s4, v8
	v_addc_co_u32_e32 v19, vcc, 0, v9, vcc
	s_movk_i32 s4, 0x6000
	v_add_co_u32_e32 v4, vcc, s4, v8
	v_addc_co_u32_e32 v5, vcc, 0, v9, vcc
	s_waitcnt lgkmcnt(0)
	; wave barrier
	s_waitcnt lgkmcnt(0)
	global_load_dwordx4 v[4:7], v[4:5], off offset:2640
	ds_read_b128 v[0:3], v152
	s_mov_b32 s4, 0x8000
	s_mov_b32 s7, 0x3febb67a
	s_waitcnt vmcnt(0) lgkmcnt(0)
	v_mul_f64 v[10:11], v[2:3], v[6:7]
	v_fma_f64 v[10:11], v[0:1], v[4:5], -v[10:11]
	v_mul_f64 v[0:1], v[0:1], v[6:7]
	v_fma_f64 v[12:13], v[2:3], v[4:5], v[0:1]
	v_add_co_u32_e32 v4, vcc, s4, v8
	v_addc_co_u32_e32 v5, vcc, 0, v9, vcc
	ds_read_b128 v[0:3], v152 offset:9072
	s_mov_b32 s4, 0xb000
	ds_write_b128 v152, v[10:13]
	global_load_dwordx4 v[10:13], v[4:5], off offset:3520
	s_waitcnt vmcnt(0) lgkmcnt(1)
	v_mul_f64 v[6:7], v[2:3], v[12:13]
	v_fma_f64 v[14:15], v[0:1], v[10:11], -v[6:7]
	v_mul_f64 v[0:1], v[0:1], v[12:13]
	v_add_co_u32_e32 v6, vcc, s4, v8
	v_addc_co_u32_e32 v7, vcc, 0, v9, vcc
	s_mov_b32 s4, 0x9000
	v_add_co_u32_e32 v20, vcc, s4, v8
	v_fma_f64 v[16:17], v[2:3], v[10:11], v[0:1]
	global_load_dwordx4 v[10:13], v[6:7], off offset:304
	ds_read_b128 v[0:3], v152 offset:18144
	v_addc_co_u32_e32 v21, vcc, 0, v9, vcc
	s_mov_b32 s4, 0xc000
	ds_write_b128 v152, v[14:17] offset:9072
	s_waitcnt vmcnt(0) lgkmcnt(1)
	v_mul_f64 v[14:15], v[2:3], v[12:13]
	v_fma_f64 v[14:15], v[0:1], v[10:11], -v[14:15]
	v_mul_f64 v[0:1], v[0:1], v[12:13]
	v_fma_f64 v[16:17], v[2:3], v[10:11], v[0:1]
	global_load_dwordx4 v[10:13], v[18:19], off offset:1008
	ds_read_b128 v[0:3], v152 offset:1008
	ds_write_b128 v152, v[14:17] offset:18144
	s_waitcnt vmcnt(0) lgkmcnt(1)
	v_mul_f64 v[14:15], v[2:3], v[12:13]
	v_fma_f64 v[14:15], v[0:1], v[10:11], -v[14:15]
	v_mul_f64 v[0:1], v[0:1], v[12:13]
	v_fma_f64 v[16:17], v[2:3], v[10:11], v[0:1]
	global_load_dwordx4 v[10:13], v[20:21], off offset:432
	ds_read_b128 v[0:3], v152 offset:10080
	;; [unrolled: 8-line block ×10, first 2 shown]
	v_add_co_u32_e32 v18, vcc, s4, v8
	v_addc_co_u32_e32 v19, vcc, 0, v9, vcc
	s_movk_i32 s4, 0x7000
	ds_write_b128 v152, v[14:17] offset:21168
	s_waitcnt vmcnt(0) lgkmcnt(1)
	v_mul_f64 v[6:7], v[2:3], v[12:13]
	v_fma_f64 v[14:15], v[0:1], v[10:11], -v[6:7]
	v_mul_f64 v[0:1], v[0:1], v[12:13]
	v_fma_f64 v[16:17], v[2:3], v[10:11], v[0:1]
	global_load_dwordx4 v[10:13], v[20:21], off offset:3456
	ds_read_b128 v[0:3], v152 offset:13104
	ds_write_b128 v152, v[14:17] offset:4032
	s_waitcnt vmcnt(0) lgkmcnt(1)
	v_mul_f64 v[6:7], v[2:3], v[12:13]
	v_fma_f64 v[14:15], v[0:1], v[10:11], -v[6:7]
	v_mul_f64 v[0:1], v[0:1], v[12:13]
	v_fma_f64 v[16:17], v[2:3], v[10:11], v[0:1]
	global_load_dwordx4 v[10:13], v[18:19], off offset:240
	ds_read_b128 v[0:3], v152 offset:22176
	ds_write_b128 v152, v[14:17] offset:13104
	s_waitcnt vmcnt(0) lgkmcnt(1)
	v_mul_f64 v[6:7], v[2:3], v[12:13]
	v_fma_f64 v[14:15], v[0:1], v[10:11], -v[6:7]
	v_mul_f64 v[0:1], v[0:1], v[12:13]
	v_add_co_u32_e32 v6, vcc, s4, v8
	v_addc_co_u32_e32 v7, vcc, 0, v9, vcc
	s_mov_b32 s4, 0xa000
	v_fma_f64 v[16:17], v[2:3], v[10:11], v[0:1]
	global_load_dwordx4 v[10:13], v[6:7], off offset:3584
	ds_read_b128 v[0:3], v152 offset:5040
	ds_write_b128 v152, v[14:17] offset:22176
	s_waitcnt vmcnt(0) lgkmcnt(1)
	v_mul_f64 v[6:7], v[2:3], v[12:13]
	v_fma_f64 v[14:15], v[0:1], v[10:11], -v[6:7]
	v_mul_f64 v[0:1], v[0:1], v[12:13]
	v_add_co_u32_e32 v6, vcc, s4, v8
	v_addc_co_u32_e32 v7, vcc, 0, v9, vcc
	s_mov_b32 s4, 0xd000
	v_fma_f64 v[16:17], v[2:3], v[10:11], v[0:1]
	global_load_dwordx4 v[10:13], v[6:7], off offset:368
	ds_read_b128 v[0:3], v152 offset:14112
	ds_write_b128 v152, v[14:17] offset:5040
	s_waitcnt vmcnt(0) lgkmcnt(1)
	v_mul_f64 v[14:15], v[2:3], v[12:13]
	v_fma_f64 v[14:15], v[0:1], v[10:11], -v[14:15]
	v_mul_f64 v[0:1], v[0:1], v[12:13]
	v_fma_f64 v[16:17], v[2:3], v[10:11], v[0:1]
	global_load_dwordx4 v[10:13], v[18:19], off offset:1248
	ds_read_b128 v[0:3], v152 offset:23184
	ds_write_b128 v152, v[14:17] offset:14112
	s_waitcnt vmcnt(0) lgkmcnt(1)
	v_mul_f64 v[14:15], v[2:3], v[12:13]
	v_fma_f64 v[14:15], v[0:1], v[10:11], -v[14:15]
	v_mul_f64 v[0:1], v[0:1], v[12:13]
	;; [unrolled: 8-line block ×8, first 2 shown]
	v_fma_f64 v[16:17], v[2:3], v[10:11], v[0:1]
	global_load_dwordx4 v[10:13], v[4:5], off offset:2512
	ds_read_b128 v[0:3], v152 offset:8064
	ds_write_b128 v152, v[14:17] offset:25200
	s_waitcnt vmcnt(0) lgkmcnt(1)
	v_mul_f64 v[4:5], v[2:3], v[12:13]
	v_fma_f64 v[14:15], v[0:1], v[10:11], -v[4:5]
	global_load_dwordx4 v[4:7], v[6:7], off offset:3392
	v_mul_f64 v[0:1], v[0:1], v[12:13]
	v_fma_f64 v[16:17], v[2:3], v[10:11], v[0:1]
	ds_read_b128 v[0:3], v152 offset:17136
	ds_write_b128 v152, v[14:17] offset:8064
	s_waitcnt vmcnt(0) lgkmcnt(1)
	v_mul_f64 v[10:11], v[2:3], v[6:7]
	v_fma_f64 v[10:11], v[0:1], v[4:5], -v[10:11]
	v_mul_f64 v[0:1], v[0:1], v[6:7]
	v_fma_f64 v[12:13], v[2:3], v[4:5], v[0:1]
	v_add_co_u32_e32 v4, vcc, s4, v8
	v_addc_co_u32_e32 v5, vcc, 0, v9, vcc
	global_load_dwordx4 v[4:7], v[4:5], off offset:176
	ds_read_b128 v[0:3], v152 offset:26208
	s_mov_b32 s4, 0xe8584caa
	ds_write_b128 v152, v[10:13] offset:17136
	s_mov_b32 s5, 0xbfebb67a
	s_mov_b32 s6, s4
	s_waitcnt vmcnt(0) lgkmcnt(1)
	v_mul_f64 v[8:9], v[2:3], v[6:7]
	v_fma_f64 v[8:9], v[0:1], v[4:5], -v[8:9]
	v_mul_f64 v[0:1], v[0:1], v[6:7]
	v_fma_f64 v[10:11], v[2:3], v[4:5], v[0:1]
	ds_write_b128 v152, v[8:11] offset:26208
	s_waitcnt lgkmcnt(0)
	; wave barrier
	s_waitcnt lgkmcnt(0)
	ds_read_b128 v[44:47], v152
	ds_read_b128 v[50:53], v152 offset:9072
	ds_read_b128 v[54:57], v152 offset:18144
	;; [unrolled: 1-line block ×26, first 2 shown]
	s_waitcnt lgkmcnt(14)
	v_add_f64 v[48:49], v[44:45], v[50:51]
	v_add_f64 v[94:95], v[52:53], -v[56:57]
	s_waitcnt lgkmcnt(6)
	v_add_f64 v[98:99], v[240:241], -v[244:245]
	s_waitcnt lgkmcnt(0)
	; wave barrier
	s_waitcnt lgkmcnt(0)
	v_add_f64 v[252:253], v[48:49], v[54:55]
	v_add_f64 v[48:49], v[50:51], v[54:55]
	v_fma_f64 v[44:45], v[48:49], -0.5, v[44:45]
	v_fma_f64 v[48:49], v[94:95], s[4:5], v[44:45]
	v_fma_f64 v[44:45], v[94:95], s[6:7], v[44:45]
	v_add_f64 v[94:95], v[46:47], v[52:53]
	v_add_f64 v[52:53], v[52:53], v[56:57]
	;; [unrolled: 1-line block ×3, first 2 shown]
	v_fma_f64 v[46:47], v[52:53], -0.5, v[46:47]
	v_add_f64 v[52:53], v[50:51], -v[54:55]
	v_add_f64 v[54:55], v[62:63], v[66:67]
	v_fma_f64 v[50:51], v[52:53], s[6:7], v[46:47]
	v_fma_f64 v[46:47], v[52:53], s[4:5], v[46:47]
	v_add_f64 v[52:53], v[58:59], v[62:63]
	v_fma_f64 v[54:55], v[54:55], -0.5, v[58:59]
	v_add_f64 v[58:59], v[64:65], -v[68:69]
	v_add_f64 v[62:63], v[62:63], -v[66:67]
	v_add_f64 v[52:53], v[52:53], v[66:67]
	v_add_f64 v[66:67], v[76:77], -v[80:81]
	v_fma_f64 v[56:57], v[58:59], s[4:5], v[54:55]
	v_fma_f64 v[94:95], v[58:59], s[6:7], v[54:55]
	v_add_f64 v[58:59], v[64:65], v[68:69]
	v_add_f64 v[54:55], v[60:61], v[64:65]
	v_fma_f64 v[60:61], v[58:59], -0.5, v[60:61]
	v_add_f64 v[54:55], v[54:55], v[68:69]
	v_fma_f64 v[58:59], v[62:63], s[6:7], v[60:61]
	v_fma_f64 v[96:97], v[62:63], s[4:5], v[60:61]
	v_add_f64 v[62:63], v[74:75], v[78:79]
	v_add_f64 v[60:61], v[70:71], v[74:75]
	v_fma_f64 v[62:63], v[62:63], -0.5, v[70:71]
	v_add_f64 v[60:61], v[60:61], v[78:79]
	v_fma_f64 v[64:65], v[66:67], s[4:5], v[62:63]
	v_fma_f64 v[68:69], v[66:67], s[6:7], v[62:63]
	v_add_f64 v[66:67], v[76:77], v[80:81]
	v_add_f64 v[62:63], v[72:73], v[76:77]
	v_fma_f64 v[70:71], v[66:67], -0.5, v[72:73]
	v_add_f64 v[72:73], v[74:75], -v[78:79]
	v_add_f64 v[74:75], v[86:87], v[90:91]
	v_add_f64 v[78:79], v[88:89], -v[92:93]
	v_add_f64 v[62:63], v[62:63], v[80:81]
	v_fma_f64 v[66:67], v[72:73], s[6:7], v[70:71]
	v_fma_f64 v[74:75], v[74:75], -0.5, v[82:83]
	v_fma_f64 v[70:71], v[72:73], s[4:5], v[70:71]
	v_add_f64 v[72:73], v[82:83], v[86:87]
	v_fma_f64 v[76:77], v[78:79], s[4:5], v[74:75]
	v_fma_f64 v[80:81], v[78:79], s[6:7], v[74:75]
	v_add_f64 v[78:79], v[88:89], v[92:93]
	v_add_f64 v[74:75], v[84:85], v[88:89]
	v_add_f64 v[88:89], v[34:35], -v[38:39]
	v_add_f64 v[72:73], v[72:73], v[90:91]
	v_fma_f64 v[82:83], v[78:79], -0.5, v[84:85]
	v_add_f64 v[84:85], v[86:87], -v[90:91]
	v_add_f64 v[86:87], v[32:33], v[36:37]
	v_add_f64 v[74:75], v[74:75], v[92:93]
	v_fma_f64 v[78:79], v[84:85], s[6:7], v[82:83]
	v_fma_f64 v[86:87], v[86:87], -0.5, v[40:41]
	v_fma_f64 v[82:83], v[84:85], s[4:5], v[82:83]
	v_add_f64 v[84:85], v[40:41], v[32:33]
	v_add_f64 v[32:33], v[32:33], -v[36:37]
	v_fma_f64 v[40:41], v[88:89], s[4:5], v[86:87]
	v_fma_f64 v[88:89], v[88:89], s[6:7], v[86:87]
	v_add_f64 v[86:87], v[42:43], v[34:35]
	v_add_f64 v[34:35], v[34:35], v[38:39]
	v_add_f64 v[84:85], v[84:85], v[36:37]
	v_add_f64 v[36:37], v[22:23], -v[26:27]
	v_add_f64 v[86:87], v[86:87], v[38:39]
	v_fma_f64 v[34:35], v[34:35], -0.5, v[42:43]
	v_fma_f64 v[42:43], v[32:33], s[6:7], v[34:35]
	v_fma_f64 v[90:91], v[32:33], s[4:5], v[34:35]
	v_add_f64 v[34:35], v[20:21], v[24:25]
	v_add_f64 v[32:33], v[28:29], v[20:21]
	v_add_f64 v[20:21], v[20:21], -v[24:25]
	v_fma_f64 v[34:35], v[34:35], -0.5, v[28:29]
	v_add_f64 v[32:33], v[32:33], v[24:25]
	v_fma_f64 v[28:29], v[36:37], s[4:5], v[34:35]
	v_fma_f64 v[36:37], v[36:37], s[6:7], v[34:35]
	v_add_f64 v[34:35], v[30:31], v[22:23]
	v_add_f64 v[22:23], v[22:23], v[26:27]
	;; [unrolled: 1-line block ×3, first 2 shown]
	v_fma_f64 v[22:23], v[22:23], -0.5, v[30:31]
	v_add_f64 v[26:27], v[242:243], -v[246:247]
	v_fma_f64 v[30:31], v[20:21], s[6:7], v[22:23]
	v_fma_f64 v[38:39], v[20:21], s[4:5], v[22:23]
	v_add_f64 v[22:23], v[240:241], v[244:245]
	v_add_f64 v[20:21], v[248:249], v[240:241]
	v_fma_f64 v[22:23], v[22:23], -0.5, v[248:249]
	v_add_f64 v[20:21], v[20:21], v[244:245]
	v_fma_f64 v[24:25], v[26:27], s[4:5], v[22:23]
	v_fma_f64 v[104:105], v[26:27], s[6:7], v[22:23]
	v_add_f64 v[26:27], v[242:243], v[246:247]
	v_add_f64 v[22:23], v[250:251], v[242:243]
	v_fma_f64 v[92:93], v[26:27], -0.5, v[250:251]
	v_add_f64 v[22:23], v[22:23], v[246:247]
	v_fma_f64 v[26:27], v[98:99], s[6:7], v[92:93]
	v_fma_f64 v[106:107], v[98:99], s[4:5], v[92:93]
	v_add_f64 v[92:93], v[236:237], v[12:13]
	v_add_f64 v[98:99], v[14:15], -v[18:19]
	v_add_f64 v[108:109], v[92:93], v[16:17]
	v_add_f64 v[92:93], v[12:13], v[16:17]
	v_add_f64 v[12:13], v[12:13], -v[16:17]
	v_add_f64 v[16:17], v[2:3], -v[6:7]
	v_fma_f64 v[92:93], v[92:93], -0.5, v[236:237]
	v_fma_f64 v[112:113], v[98:99], s[4:5], v[92:93]
	v_fma_f64 v[116:117], v[98:99], s[6:7], v[92:93]
	v_add_f64 v[92:93], v[238:239], v[14:15]
	v_add_f64 v[14:15], v[14:15], v[18:19]
	v_add_f64 v[110:111], v[92:93], v[18:19]
	v_fma_f64 v[14:15], v[14:15], -0.5, v[238:239]
	v_fma_f64 v[114:115], v[12:13], s[6:7], v[14:15]
	v_fma_f64 v[118:119], v[12:13], s[4:5], v[14:15]
	v_add_f64 v[14:15], v[0:1], v[4:5]
	v_add_f64 v[12:13], v[8:9], v[0:1]
	v_add_f64 v[0:1], v[0:1], -v[4:5]
	v_fma_f64 v[14:15], v[14:15], -0.5, v[8:9]
	v_add_f64 v[12:13], v[12:13], v[4:5]
	v_fma_f64 v[8:9], v[16:17], s[4:5], v[14:15]
	v_fma_f64 v[16:17], v[16:17], s[6:7], v[14:15]
	v_add_f64 v[14:15], v[10:11], v[2:3]
	v_add_f64 v[2:3], v[2:3], v[6:7]
	v_add_f64 v[14:15], v[14:15], v[6:7]
	v_fma_f64 v[2:3], v[2:3], -0.5, v[10:11]
	v_fma_f64 v[10:11], v[0:1], s[6:7], v[2:3]
	v_fma_f64 v[18:19], v[0:1], s[4:5], v[2:3]
	buffer_load_dword v0, off, s[36:39], 0 offset:1652 ; 4-byte Folded Reload
	s_waitcnt vmcnt(0)
	ds_write_b128 v0, v[252:255]
	ds_write_b128 v0, v[48:51] offset:16
	ds_write_b128 v0, v[44:47] offset:32
	buffer_load_dword v0, off, s[36:39], 0 offset:1648 ; 4-byte Folded Reload
	s_waitcnt vmcnt(0)
	ds_write_b128 v0, v[52:55]
	ds_write_b128 v0, v[56:59] offset:16
	ds_write_b128 v0, v[94:97] offset:32
	;; [unrolled: 5-line block ×9, first 2 shown]
	s_waitcnt lgkmcnt(0)
	; wave barrier
	s_waitcnt lgkmcnt(0)
	ds_read_b128 v[12:15], v152
	ds_read_b128 v[16:19], v152 offset:9072
	ds_read_b128 v[20:23], v152 offset:18144
	;; [unrolled: 1-line block ×26, first 2 shown]
	s_waitcnt lgkmcnt(14)
	v_mul_f64 v[112:113], v[146:147], v[18:19]
	s_waitcnt lgkmcnt(0)
	; wave barrier
	s_waitcnt lgkmcnt(0)
	v_fma_f64 v[112:113], v[144:145], v[16:17], v[112:113]
	v_mul_f64 v[16:17], v[146:147], v[16:17]
	v_fma_f64 v[16:17], v[144:145], v[18:19], -v[16:17]
	v_mul_f64 v[18:19], v[138:139], v[22:23]
	v_fma_f64 v[18:19], v[136:137], v[20:21], v[18:19]
	v_mul_f64 v[20:21], v[138:139], v[20:21]
	v_fma_f64 v[20:21], v[136:137], v[22:23], -v[20:21]
	v_mul_f64 v[22:23], v[158:159], v[30:31]
	;; [unrolled: 4-line block ×7, first 2 shown]
	v_add_f64 v[54:55], v[16:17], -v[20:21]
	v_fma_f64 v[116:117], v[176:177], v[56:57], v[52:53]
	v_mul_f64 v[52:53], v[178:179], v[56:57]
	v_fma_f64 v[118:119], v[176:177], v[58:59], -v[52:53]
	v_mul_f64 v[52:53], v[202:203], v[66:67]
	v_fma_f64 v[120:121], v[200:201], v[64:65], v[52:53]
	v_mul_f64 v[52:53], v[202:203], v[64:65]
	v_fma_f64 v[122:123], v[200:201], v[66:67], -v[52:53]
	v_mul_f64 v[52:53], v[194:195], v[70:71]
	;; [unrolled: 4-line block ×10, first 2 shown]
	v_fma_f64 v[106:107], v[232:233], v[108:109], v[52:53]
	v_mul_f64 v[52:53], v[234:235], v[108:109]
	v_fma_f64 v[108:109], v[232:233], v[110:111], -v[52:53]
	v_add_f64 v[52:53], v[12:13], v[112:113]
	v_add_f64 v[192:193], v[52:53], v[18:19]
	;; [unrolled: 1-line block ×3, first 2 shown]
	v_fma_f64 v[12:13], v[52:53], -0.5, v[12:13]
	v_fma_f64 v[52:53], v[54:55], s[4:5], v[12:13]
	v_fma_f64 v[56:57], v[54:55], s[6:7], v[12:13]
	v_add_f64 v[12:13], v[14:15], v[16:17]
	v_add_f64 v[194:195], v[12:13], v[20:21]
	;; [unrolled: 1-line block ×3, first 2 shown]
	v_fma_f64 v[12:13], v[12:13], -0.5, v[14:15]
	v_add_f64 v[14:15], v[112:113], -v[18:19]
	v_fma_f64 v[54:55], v[14:15], s[6:7], v[12:13]
	v_fma_f64 v[58:59], v[14:15], s[4:5], v[12:13]
	v_add_f64 v[12:13], v[24:25], v[22:23]
	v_add_f64 v[14:15], v[28:29], -v[32:33]
	v_add_f64 v[64:65], v[12:13], v[30:31]
	v_add_f64 v[12:13], v[22:23], v[30:31]
	v_fma_f64 v[12:13], v[12:13], -0.5, v[24:25]
	v_fma_f64 v[68:69], v[14:15], s[4:5], v[12:13]
	v_fma_f64 v[76:77], v[14:15], s[6:7], v[12:13]
	v_add_f64 v[12:13], v[26:27], v[28:29]
	v_add_f64 v[14:15], v[22:23], -v[30:31]
	v_add_f64 v[66:67], v[12:13], v[32:33]
	v_add_f64 v[12:13], v[28:29], v[32:33]
	v_fma_f64 v[12:13], v[12:13], -0.5, v[26:27]
	;; [unrolled: 7-line block ×7, first 2 shown]
	v_add_f64 v[60:61], v[98:99], -v[106:107]
	v_fma_f64 v[148:149], v[14:15], s[4:5], v[12:13]
	v_fma_f64 v[40:41], v[14:15], s[6:7], v[12:13]
	v_add_f64 v[12:13], v[62:63], v[122:123]
	v_add_f64 v[14:15], v[120:121], -v[124:125]
	v_add_f64 v[158:159], v[12:13], v[126:127]
	v_add_f64 v[12:13], v[122:123], v[126:127]
	v_fma_f64 v[12:13], v[12:13], -0.5, v[62:63]
	v_fma_f64 v[150:151], v[14:15], s[6:7], v[12:13]
	v_fma_f64 v[42:43], v[14:15], s[4:5], v[12:13]
	v_add_f64 v[12:13], v[72:73], v[128:129]
	v_add_f64 v[14:15], v[130:131], -v[80:81]
	v_add_f64 v[36:37], v[12:13], v[136:137]
	v_add_f64 v[12:13], v[128:129], v[136:137]
	v_fma_f64 v[12:13], v[12:13], -0.5, v[72:73]
	;; [unrolled: 7-line block ×3, first 2 shown]
	v_fma_f64 v[34:35], v[14:15], s[6:7], v[12:13]
	v_fma_f64 v[30:31], v[14:15], s[4:5], v[12:13]
	v_add_f64 v[12:13], v[8:9], v[82:83]
	v_add_f64 v[24:25], v[12:13], v[86:87]
	v_add_f64 v[12:13], v[82:83], v[86:87]
	v_fma_f64 v[8:9], v[12:13], -0.5, v[8:9]
	v_add_f64 v[12:13], v[84:85], -v[88:89]
	v_fma_f64 v[20:21], v[12:13], s[4:5], v[8:9]
	v_fma_f64 v[144:145], v[12:13], s[6:7], v[8:9]
	v_add_f64 v[8:9], v[10:11], v[84:85]
	v_add_f64 v[26:27], v[8:9], v[88:89]
	v_add_f64 v[8:9], v[84:85], v[88:89]
	v_fma_f64 v[8:9], v[8:9], -0.5, v[10:11]
	v_add_f64 v[10:11], v[82:83], -v[86:87]
	;; [unrolled: 7-line block ×4, first 2 shown]
	v_fma_f64 v[18:19], v[6:7], s[6:7], v[4:5]
	v_fma_f64 v[14:15], v[6:7], s[4:5], v[4:5]
	v_add_f64 v[4:5], v[0:1], v[98:99]
	v_add_f64 v[6:7], v[104:105], -v[108:109]
	v_add_f64 v[8:9], v[4:5], v[106:107]
	v_add_f64 v[4:5], v[98:99], v[106:107]
	v_fma_f64 v[0:1], v[4:5], -0.5, v[0:1]
	v_fma_f64 v[4:5], v[6:7], s[4:5], v[0:1]
	v_fma_f64 v[0:1], v[6:7], s[6:7], v[0:1]
	v_add_f64 v[6:7], v[2:3], v[104:105]
	v_add_f64 v[10:11], v[6:7], v[108:109]
	;; [unrolled: 1-line block ×3, first 2 shown]
	v_fma_f64 v[2:3], v[6:7], -0.5, v[2:3]
	v_fma_f64 v[6:7], v[60:61], s[6:7], v[2:3]
	v_fma_f64 v[2:3], v[60:61], s[4:5], v[2:3]
	buffer_load_dword v60, off, s[36:39], 0 offset:1632 ; 4-byte Folded Reload
	s_waitcnt vmcnt(0)
	ds_write_b128 v60, v[192:195]
	ds_write_b128 v60, v[52:55] offset:48
	ds_write_b128 v60, v[56:59] offset:96
	buffer_load_dword v52, off, s[36:39], 0 offset:1616 ; 4-byte Folded Reload
	s_waitcnt vmcnt(0)
	ds_write_b128 v52, v[64:67]
	ds_write_b128 v52, v[68:71] offset:48
	ds_write_b128 v52, v[76:79] offset:96
	;; [unrolled: 5-line block ×9, first 2 shown]
	s_waitcnt lgkmcnt(0)
	; wave barrier
	s_waitcnt lgkmcnt(0)
	ds_read_b128 v[12:15], v152
	ds_read_b128 v[16:19], v152 offset:9072
	ds_read_b128 v[20:23], v152 offset:18144
	;; [unrolled: 1-line block ×26, first 2 shown]
	buffer_load_dword v114, off, s[36:39], 0 offset:1432 ; 4-byte Folded Reload
	buffer_load_dword v115, off, s[36:39], 0 offset:1436 ; 4-byte Folded Reload
	buffer_load_dword v116, off, s[36:39], 0 offset:1440 ; 4-byte Folded Reload
	buffer_load_dword v117, off, s[36:39], 0 offset:1444 ; 4-byte Folded Reload
	s_waitcnt vmcnt(0) lgkmcnt(14)
	v_mul_f64 v[112:113], v[116:117], v[18:19]
	v_fma_f64 v[112:113], v[114:115], v[16:17], v[112:113]
	v_mul_f64 v[16:17], v[116:117], v[16:17]
	v_fma_f64 v[16:17], v[114:115], v[18:19], -v[16:17]
	buffer_load_dword v114, off, s[36:39], 0 offset:1416 ; 4-byte Folded Reload
	buffer_load_dword v115, off, s[36:39], 0 offset:1420 ; 4-byte Folded Reload
	;; [unrolled: 1-line block ×4, first 2 shown]
	s_waitcnt vmcnt(0)
	v_mul_f64 v[18:19], v[116:117], v[22:23]
	v_fma_f64 v[18:19], v[114:115], v[20:21], v[18:19]
	v_mul_f64 v[20:21], v[116:117], v[20:21]
	v_fma_f64 v[20:21], v[114:115], v[22:23], -v[20:21]
	buffer_load_dword v114, off, s[36:39], 0 offset:1448 ; 4-byte Folded Reload
	buffer_load_dword v115, off, s[36:39], 0 offset:1452 ; 4-byte Folded Reload
	;; [unrolled: 1-line block ×4, first 2 shown]
	s_waitcnt vmcnt(0)
	v_mul_f64 v[22:23], v[116:117], v[30:31]
	v_fma_f64 v[22:23], v[114:115], v[28:29], v[22:23]
	v_mul_f64 v[28:29], v[116:117], v[28:29]
	v_fma_f64 v[28:29], v[114:115], v[30:31], -v[28:29]
	buffer_load_dword v114, off, s[36:39], 0 offset:1480 ; 4-byte Folded Reload
	buffer_load_dword v115, off, s[36:39], 0 offset:1484 ; 4-byte Folded Reload
	buffer_load_dword v116, off, s[36:39], 0 offset:1488 ; 4-byte Folded Reload
	buffer_load_dword v117, off, s[36:39], 0 offset:1492 ; 4-byte Folded Reload
	buffer_load_dword v118, off, s[36:39], 0 offset:1496 ; 4-byte Folded Reload
	buffer_load_dword v119, off, s[36:39], 0 offset:1500 ; 4-byte Folded Reload
	buffer_load_dword v120, off, s[36:39], 0 offset:1504 ; 4-byte Folded Reload
	buffer_load_dword v121, off, s[36:39], 0 offset:1508 ; 4-byte Folded Reload
	s_waitcnt vmcnt(4)
	v_mul_f64 v[30:31], v[116:117], v[34:35]
	v_fma_f64 v[30:31], v[114:115], v[32:33], v[30:31]
	v_mul_f64 v[32:33], v[116:117], v[32:33]
	v_fma_f64 v[114:115], v[114:115], v[34:35], -v[32:33]
	s_waitcnt vmcnt(0)
	v_mul_f64 v[32:33], v[120:121], v[42:43]
	v_add_f64 v[34:35], v[112:113], v[18:19]
	v_fma_f64 v[116:117], v[118:119], v[40:41], v[32:33]
	v_mul_f64 v[32:33], v[120:121], v[40:41]
	v_fma_f64 v[118:119], v[118:119], v[42:43], -v[32:33]
	buffer_load_dword v40, off, s[36:39], 0 offset:1516 ; 4-byte Folded Reload
	buffer_load_dword v41, off, s[36:39], 0 offset:1520 ; 4-byte Folded Reload
	buffer_load_dword v42, off, s[36:39], 0 offset:1524 ; 4-byte Folded Reload
	buffer_load_dword v43, off, s[36:39], 0 offset:1528 ; 4-byte Folded Reload
	s_waitcnt vmcnt(0)
	v_mul_f64 v[32:33], v[42:43], v[46:47]
	v_fma_f64 v[120:121], v[40:41], v[44:45], v[32:33]
	v_mul_f64 v[32:33], v[42:43], v[44:45]
	v_fma_f64 v[122:123], v[40:41], v[46:47], -v[32:33]
	buffer_load_dword v40, off, s[36:39], 0 offset:1532 ; 4-byte Folded Reload
	buffer_load_dword v41, off, s[36:39], 0 offset:1536 ; 4-byte Folded Reload
	buffer_load_dword v42, off, s[36:39], 0 offset:1540 ; 4-byte Folded Reload
	buffer_load_dword v43, off, s[36:39], 0 offset:1544 ; 4-byte Folded Reload
	s_waitcnt vmcnt(0)
	v_mul_f64 v[32:33], v[42:43], v[54:55]
	;; [unrolled: 9-line block ×3, first 2 shown]
	v_fma_f64 v[128:129], v[40:41], v[56:57], v[32:33]
	v_mul_f64 v[32:33], v[42:43], v[56:57]
	v_fma_f64 v[130:131], v[40:41], v[58:59], -v[32:33]
	buffer_load_dword v40, off, s[36:39], 0 offset:1568 ; 4-byte Folded Reload
	buffer_load_dword v41, off, s[36:39], 0 offset:1572 ; 4-byte Folded Reload
	;; [unrolled: 1-line block ×4, first 2 shown]
	s_waitcnt vmcnt(0) lgkmcnt(13)
	v_mul_f64 v[32:33], v[42:43], v[66:67]
	v_fma_f64 v[144:145], v[40:41], v[64:65], v[32:33]
	v_mul_f64 v[32:33], v[42:43], v[64:65]
	v_fma_f64 v[146:147], v[40:41], v[66:67], -v[32:33]
	buffer_load_dword v40, off, s[36:39], 0 offset:1588 ; 4-byte Folded Reload
	buffer_load_dword v41, off, s[36:39], 0 offset:1592 ; 4-byte Folded Reload
	;; [unrolled: 1-line block ×4, first 2 shown]
	s_waitcnt lgkmcnt(0)
	; wave barrier
	s_waitcnt vmcnt(0) lgkmcnt(0)
	v_mul_f64 v[32:33], v[42:43], v[70:71]
	v_fma_f64 v[148:149], v[40:41], v[68:69], v[32:33]
	v_mul_f64 v[32:33], v[42:43], v[68:69]
	v_fma_f64 v[68:69], v[40:41], v[70:71], -v[32:33]
	v_mul_f64 v[32:33], v[134:135], v[78:79]
	v_fma_f64 v[70:71], v[132:133], v[76:77], v[32:33]
	v_mul_f64 v[32:33], v[134:135], v[76:77]
	v_fma_f64 v[76:77], v[132:133], v[78:79], -v[32:33]
	;; [unrolled: 4-line block ×9, first 2 shown]
	v_add_f64 v[32:33], v[12:13], v[112:113]
	v_fma_f64 v[12:13], v[34:35], -0.5, v[12:13]
	v_add_f64 v[34:35], v[16:17], -v[20:21]
	v_add_f64 v[32:33], v[32:33], v[18:19]
	v_fma_f64 v[40:41], v[34:35], s[4:5], v[12:13]
	v_fma_f64 v[44:45], v[34:35], s[6:7], v[12:13]
	v_add_f64 v[12:13], v[14:15], v[16:17]
	v_add_f64 v[34:35], v[12:13], v[20:21]
	;; [unrolled: 1-line block ×3, first 2 shown]
	v_add_f64 v[16:17], v[70:71], -v[78:79]
	v_fma_f64 v[12:13], v[12:13], -0.5, v[14:15]
	v_add_f64 v[14:15], v[112:113], -v[18:19]
	v_add_f64 v[18:19], v[156:157], -v[160:161]
	v_fma_f64 v[42:43], v[14:15], s[6:7], v[12:13]
	v_fma_f64 v[46:47], v[14:15], s[4:5], v[12:13]
	v_add_f64 v[12:13], v[24:25], v[22:23]
	v_add_f64 v[14:15], v[28:29], -v[114:115]
	v_add_f64 v[52:53], v[12:13], v[30:31]
	v_add_f64 v[12:13], v[22:23], v[30:31]
	v_fma_f64 v[12:13], v[12:13], -0.5, v[24:25]
	v_fma_f64 v[56:57], v[14:15], s[4:5], v[12:13]
	v_fma_f64 v[64:65], v[14:15], s[6:7], v[12:13]
	v_add_f64 v[12:13], v[26:27], v[28:29]
	v_add_f64 v[14:15], v[22:23], -v[30:31]
	v_add_f64 v[54:55], v[12:13], v[114:115]
	v_add_f64 v[12:13], v[28:29], v[114:115]
	v_fma_f64 v[12:13], v[12:13], -0.5, v[26:27]
	;; [unrolled: 7-line block ×3, first 2 shown]
	v_add_f64 v[36:37], v[154:155], -v[158:159]
	v_fma_f64 v[24:25], v[14:15], s[4:5], v[12:13]
	v_fma_f64 v[20:21], v[14:15], s[6:7], v[12:13]
	v_add_f64 v[12:13], v[38:39], v[118:119]
	v_add_f64 v[14:15], v[116:117], -v[120:121]
	v_add_f64 v[30:31], v[12:13], v[122:123]
	v_add_f64 v[12:13], v[118:119], v[122:123]
	v_fma_f64 v[12:13], v[12:13], -0.5, v[38:39]
	v_fma_f64 v[26:27], v[14:15], s[6:7], v[12:13]
	v_fma_f64 v[22:23], v[14:15], s[4:5], v[12:13]
	v_add_f64 v[12:13], v[48:49], v[124:125]
	v_add_f64 v[14:15], v[126:127], -v[130:131]
	v_add_f64 v[140:141], v[12:13], v[128:129]
	v_add_f64 v[12:13], v[124:125], v[128:129]
	v_fma_f64 v[12:13], v[12:13], -0.5, v[48:49]
	;; [unrolled: 7-line block ×6, first 2 shown]
	v_fma_f64 v[120:121], v[14:15], s[4:5], v[12:13]
	v_fma_f64 v[12:13], v[14:15], s[6:7], v[12:13]
	v_add_f64 v[14:15], v[74:75], v[76:77]
	v_add_f64 v[126:127], v[14:15], v[80:81]
	v_add_f64 v[14:15], v[76:77], v[80:81]
	v_fma_f64 v[14:15], v[14:15], -0.5, v[74:75]
	v_fma_f64 v[122:123], v[16:17], s[6:7], v[14:15]
	v_fma_f64 v[14:15], v[16:17], s[4:5], v[14:15]
	v_add_f64 v[16:17], v[8:9], v[82:83]
	v_add_f64 v[116:117], v[16:17], v[86:87]
	v_add_f64 v[16:17], v[82:83], v[86:87]
	v_fma_f64 v[8:9], v[16:17], -0.5, v[8:9]
	v_add_f64 v[16:17], v[84:85], -v[88:89]
	v_fma_f64 v[112:113], v[16:17], s[4:5], v[8:9]
	v_fma_f64 v[8:9], v[16:17], s[6:7], v[8:9]
	v_add_f64 v[16:17], v[10:11], v[84:85]
	v_add_f64 v[118:119], v[16:17], v[88:89]
	v_add_f64 v[16:17], v[84:85], v[88:89]
	v_fma_f64 v[10:11], v[16:17], -0.5, v[10:11]
	v_add_f64 v[16:17], v[82:83], -v[86:87]
	;; [unrolled: 7-line block ×4, first 2 shown]
	v_fma_f64 v[102:103], v[16:17], s[6:7], v[6:7]
	v_fma_f64 v[6:7], v[16:17], s[4:5], v[6:7]
	v_add_f64 v[16:17], v[0:1], v[154:155]
	v_add_f64 v[96:97], v[16:17], v[158:159]
	;; [unrolled: 1-line block ×3, first 2 shown]
	v_fma_f64 v[0:1], v[16:17], -0.5, v[0:1]
	v_fma_f64 v[16:17], v[18:19], s[4:5], v[0:1]
	v_fma_f64 v[0:1], v[18:19], s[6:7], v[0:1]
	v_add_f64 v[18:19], v[2:3], v[156:157]
	v_add_f64 v[98:99], v[18:19], v[160:161]
	;; [unrolled: 1-line block ×3, first 2 shown]
	v_fma_f64 v[2:3], v[18:19], -0.5, v[2:3]
	v_fma_f64 v[18:19], v[36:37], s[6:7], v[2:3]
	v_fma_f64 v[2:3], v[36:37], s[4:5], v[2:3]
	buffer_load_dword v36, off, s[36:39], 0 offset:1476 ; 4-byte Folded Reload
	s_waitcnt vmcnt(0)
	ds_write_b128 v36, v[32:35]
	ds_write_b128 v36, v[40:43] offset:144
	ds_write_b128 v36, v[44:47] offset:288
	buffer_load_dword v32, off, s[36:39], 0 offset:1468 ; 4-byte Folded Reload
	s_waitcnt vmcnt(0)
	ds_write_b128 v32, v[52:55]
	ds_write_b128 v32, v[56:59] offset:144
	ds_write_b128 v32, v[64:67] offset:288
	;; [unrolled: 5-line block ×9, first 2 shown]
	s_waitcnt lgkmcnt(0)
	; wave barrier
	s_waitcnt lgkmcnt(0)
	ds_read_b128 v[24:27], v152
	ds_read_b128 v[20:23], v152 offset:9072
	ds_read_b128 v[28:31], v152 offset:18144
	;; [unrolled: 1-line block ×26, first 2 shown]
	buffer_load_dword v84, off, s[36:39], 0 offset:1100 ; 4-byte Folded Reload
	buffer_load_dword v85, off, s[36:39], 0 offset:1104 ; 4-byte Folded Reload
	;; [unrolled: 1-line block ×4, first 2 shown]
	s_waitcnt vmcnt(0) lgkmcnt(14)
	v_mul_f64 v[32:33], v[86:87], v[22:23]
	v_fma_f64 v[32:33], v[84:85], v[20:21], v[32:33]
	v_mul_f64 v[20:21], v[86:87], v[20:21]
	v_fma_f64 v[116:117], v[84:85], v[22:23], -v[20:21]
	buffer_load_dword v84, off, s[36:39], 0 offset:1120 ; 4-byte Folded Reload
	buffer_load_dword v85, off, s[36:39], 0 offset:1124 ; 4-byte Folded Reload
	;; [unrolled: 1-line block ×4, first 2 shown]
	s_waitcnt vmcnt(0)
	v_mul_f64 v[20:21], v[86:87], v[30:31]
	v_fma_f64 v[118:119], v[84:85], v[28:29], v[20:21]
	v_mul_f64 v[20:21], v[86:87], v[28:29]
	v_add_f64 v[22:23], v[32:33], v[118:119]
	v_fma_f64 v[30:31], v[84:85], v[30:31], -v[20:21]
	buffer_load_dword v84, off, s[36:39], 0 offset:1144 ; 4-byte Folded Reload
	buffer_load_dword v85, off, s[36:39], 0 offset:1148 ; 4-byte Folded Reload
	;; [unrolled: 1-line block ×4, first 2 shown]
	v_fma_f64 v[22:23], v[22:23], -0.5, v[24:25]
	s_waitcnt vmcnt(0)
	v_mul_f64 v[20:21], v[86:87], v[40:41]
	v_fma_f64 v[120:121], v[84:85], v[38:39], v[20:21]
	v_mul_f64 v[20:21], v[86:87], v[38:39]
	v_fma_f64 v[40:41], v[84:85], v[40:41], -v[20:21]
	buffer_load_dword v84, off, s[36:39], 0 offset:1172 ; 4-byte Folded Reload
	buffer_load_dword v85, off, s[36:39], 0 offset:1176 ; 4-byte Folded Reload
	;; [unrolled: 1-line block ×4, first 2 shown]
	s_waitcnt vmcnt(0)
	v_mul_f64 v[20:21], v[86:87], v[44:45]
	v_fma_f64 v[122:123], v[84:85], v[42:43], v[20:21]
	v_mul_f64 v[20:21], v[86:87], v[42:43]
	v_add_f64 v[38:39], v[120:121], v[122:123]
	v_fma_f64 v[44:45], v[84:85], v[44:45], -v[20:21]
	buffer_load_dword v84, off, s[36:39], 0 offset:1188 ; 4-byte Folded Reload
	buffer_load_dword v85, off, s[36:39], 0 offset:1192 ; 4-byte Folded Reload
	buffer_load_dword v86, off, s[36:39], 0 offset:1196 ; 4-byte Folded Reload
	buffer_load_dword v87, off, s[36:39], 0 offset:1200 ; 4-byte Folded Reload
	s_waitcnt vmcnt(0)
	v_mul_f64 v[20:21], v[86:87], v[48:49]
	v_fma_f64 v[124:125], v[84:85], v[46:47], v[20:21]
	v_mul_f64 v[20:21], v[86:87], v[46:47]
	v_fma_f64 v[126:127], v[84:85], v[48:49], -v[20:21]
	buffer_load_dword v46, off, s[36:39], 0 offset:1204 ; 4-byte Folded Reload
	buffer_load_dword v47, off, s[36:39], 0 offset:1208 ; 4-byte Folded Reload
	buffer_load_dword v48, off, s[36:39], 0 offset:1212 ; 4-byte Folded Reload
	buffer_load_dword v49, off, s[36:39], 0 offset:1216 ; 4-byte Folded Reload
	s_waitcnt vmcnt(0)
	v_mul_f64 v[20:21], v[48:49], v[52:53]
	v_fma_f64 v[128:129], v[46:47], v[50:51], v[20:21]
	v_mul_f64 v[20:21], v[48:49], v[50:51]
	;; [unrolled: 9-line block ×4, first 2 shown]
	v_fma_f64 v[136:137], v[46:47], v[60:61], -v[20:21]
	buffer_load_dword v46, off, s[36:39], 0 offset:1252 ; 4-byte Folded Reload
	buffer_load_dword v47, off, s[36:39], 0 offset:1256 ; 4-byte Folded Reload
	buffer_load_dword v48, off, s[36:39], 0 offset:1260 ; 4-byte Folded Reload
	buffer_load_dword v49, off, s[36:39], 0 offset:1264 ; 4-byte Folded Reload
	v_add_f64 v[60:61], v[132:133], -v[136:137]
	s_waitcnt vmcnt(0) lgkmcnt(13)
	v_mul_f64 v[20:21], v[48:49], v[64:65]
	v_fma_f64 v[138:139], v[46:47], v[62:63], v[20:21]
	v_mul_f64 v[20:21], v[48:49], v[62:63]
	v_fma_f64 v[140:141], v[46:47], v[64:65], -v[20:21]
	buffer_load_dword v46, off, s[36:39], 0 offset:1268 ; 4-byte Folded Reload
	buffer_load_dword v47, off, s[36:39], 0 offset:1272 ; 4-byte Folded Reload
	buffer_load_dword v48, off, s[36:39], 0 offset:1276 ; 4-byte Folded Reload
	buffer_load_dword v49, off, s[36:39], 0 offset:1280 ; 4-byte Folded Reload
	s_waitcnt vmcnt(0) lgkmcnt(12)
	v_mul_f64 v[20:21], v[48:49], v[68:69]
	v_fma_f64 v[142:143], v[46:47], v[66:67], v[20:21]
	v_mul_f64 v[20:21], v[48:49], v[66:67]
	v_fma_f64 v[144:145], v[46:47], v[68:69], -v[20:21]
	buffer_load_dword v46, off, s[36:39], 0 offset:1284 ; 4-byte Folded Reload
	buffer_load_dword v47, off, s[36:39], 0 offset:1288 ; 4-byte Folded Reload
	buffer_load_dword v48, off, s[36:39], 0 offset:1292 ; 4-byte Folded Reload
	buffer_load_dword v49, off, s[36:39], 0 offset:1296 ; 4-byte Folded Reload
	;; [unrolled: 9-line block ×7, first 2 shown]
	v_add_f64 v[102:103], v[138:139], -v[142:143]
	s_waitcnt vmcnt(0) lgkmcnt(3)
	v_mul_f64 v[20:21], v[48:49], v[106:107]
	v_fma_f64 v[74:75], v[46:47], v[104:105], v[20:21]
	v_mul_f64 v[20:21], v[48:49], v[104:105]
	v_fma_f64 v[76:77], v[46:47], v[106:107], -v[20:21]
	buffer_load_dword v46, off, s[36:39], 0 offset:1384 ; 4-byte Folded Reload
	buffer_load_dword v47, off, s[36:39], 0 offset:1388 ; 4-byte Folded Reload
	;; [unrolled: 1-line block ×4, first 2 shown]
	v_add_f64 v[106:107], v[146:147], -v[150:151]
	s_waitcnt vmcnt(0) lgkmcnt(1)
	v_mul_f64 v[20:21], v[48:49], v[110:111]
	v_fma_f64 v[62:63], v[46:47], v[108:109], v[20:21]
	v_mul_f64 v[20:21], v[48:49], v[108:109]
	v_fma_f64 v[66:67], v[46:47], v[110:111], -v[20:21]
	buffer_load_dword v46, off, s[36:39], 0 offset:1400 ; 4-byte Folded Reload
	buffer_load_dword v47, off, s[36:39], 0 offset:1404 ; 4-byte Folded Reload
	;; [unrolled: 1-line block ×4, first 2 shown]
	s_waitcnt lgkmcnt(0)
	; wave barrier
	s_waitcnt vmcnt(0) lgkmcnt(0)
	v_mul_f64 v[20:21], v[48:49], v[114:115]
	v_fma_f64 v[64:65], v[46:47], v[112:113], v[20:21]
	v_mul_f64 v[20:21], v[48:49], v[112:113]
	v_add_f64 v[48:49], v[126:127], -v[52:53]
	v_fma_f64 v[68:69], v[46:47], v[114:115], -v[20:21]
	v_add_f64 v[20:21], v[24:25], v[32:33]
	v_add_f64 v[24:25], v[116:117], -v[30:31]
	v_add_f64 v[32:33], v[32:33], -v[118:119]
	v_add_f64 v[20:21], v[20:21], v[118:119]
	v_fma_f64 v[28:29], v[24:25], s[4:5], v[22:23]
	v_fma_f64 v[24:25], v[24:25], s[6:7], v[22:23]
	v_add_f64 v[22:23], v[26:27], v[116:117]
	v_add_f64 v[22:23], v[22:23], v[30:31]
	;; [unrolled: 1-line block ×3, first 2 shown]
	v_fma_f64 v[26:27], v[30:31], -0.5, v[26:27]
	v_fma_f64 v[30:31], v[32:33], s[6:7], v[26:27]
	v_fma_f64 v[26:27], v[32:33], s[4:5], v[26:27]
	v_add_f64 v[32:33], v[34:35], v[120:121]
	v_fma_f64 v[34:35], v[38:39], -0.5, v[34:35]
	v_add_f64 v[38:39], v[40:41], -v[44:45]
	v_add_f64 v[32:33], v[32:33], v[122:123]
	v_fma_f64 v[42:43], v[38:39], s[4:5], v[34:35]
	v_fma_f64 v[38:39], v[38:39], s[6:7], v[34:35]
	v_add_f64 v[34:35], v[36:37], v[40:41]
	v_add_f64 v[40:41], v[40:41], v[44:45]
	;; [unrolled: 1-line block ×3, first 2 shown]
	v_fma_f64 v[36:37], v[40:41], -0.5, v[36:37]
	v_add_f64 v[40:41], v[120:121], -v[122:123]
	v_fma_f64 v[44:45], v[40:41], s[6:7], v[36:37]
	v_fma_f64 v[40:41], v[40:41], s[4:5], v[36:37]
	v_add_f64 v[36:37], v[96:97], v[124:125]
	v_add_f64 v[46:47], v[36:37], v[128:129]
	;; [unrolled: 1-line block ×3, first 2 shown]
	v_fma_f64 v[36:37], v[36:37], -0.5, v[96:97]
	v_fma_f64 v[54:55], v[48:49], s[4:5], v[36:37]
	v_fma_f64 v[50:51], v[48:49], s[6:7], v[36:37]
	v_add_f64 v[36:37], v[98:99], v[126:127]
	v_add_f64 v[48:49], v[36:37], v[52:53]
	v_add_f64 v[36:37], v[126:127], v[52:53]
	v_add_f64 v[52:53], v[124:125], -v[128:129]
	v_fma_f64 v[36:37], v[36:37], -0.5, v[98:99]
	v_add_f64 v[98:99], v[140:141], -v[144:145]
	v_fma_f64 v[56:57], v[52:53], s[6:7], v[36:37]
	v_fma_f64 v[52:53], v[52:53], s[4:5], v[36:37]
	v_add_f64 v[36:37], v[92:93], v[130:131]
	v_add_f64 v[58:59], v[36:37], v[134:135]
	;; [unrolled: 1-line block ×3, first 2 shown]
	v_fma_f64 v[36:37], v[36:37], -0.5, v[92:93]
	v_fma_f64 v[88:89], v[60:61], s[4:5], v[36:37]
	v_fma_f64 v[92:93], v[60:61], s[6:7], v[36:37]
	v_add_f64 v[36:37], v[94:95], v[132:133]
	v_add_f64 v[60:61], v[36:37], v[136:137]
	;; [unrolled: 1-line block ×3, first 2 shown]
	v_fma_f64 v[36:37], v[36:37], -0.5, v[94:95]
	v_add_f64 v[94:95], v[130:131], -v[134:135]
	v_fma_f64 v[90:91], v[94:95], s[6:7], v[36:37]
	v_fma_f64 v[94:95], v[94:95], s[4:5], v[36:37]
	v_add_f64 v[36:37], v[16:17], v[138:139]
	v_add_f64 v[96:97], v[36:37], v[142:143]
	;; [unrolled: 1-line block ×3, first 2 shown]
	v_fma_f64 v[36:37], v[36:37], -0.5, v[16:17]
	v_fma_f64 v[16:17], v[98:99], s[4:5], v[36:37]
	v_fma_f64 v[100:101], v[98:99], s[6:7], v[36:37]
	v_add_f64 v[36:37], v[18:19], v[140:141]
	v_add_f64 v[98:99], v[36:37], v[144:145]
	;; [unrolled: 1-line block ×3, first 2 shown]
	v_fma_f64 v[36:37], v[36:37], -0.5, v[18:19]
	v_fma_f64 v[18:19], v[102:103], s[6:7], v[36:37]
	v_fma_f64 v[102:103], v[102:103], s[4:5], v[36:37]
	v_add_f64 v[36:37], v[12:13], v[86:87]
	v_add_f64 v[104:105], v[36:37], v[148:149]
	v_add_f64 v[36:37], v[86:87], v[148:149]
	v_add_f64 v[86:87], v[86:87], -v[148:149]
	v_fma_f64 v[36:37], v[36:37], -0.5, v[12:13]
	v_fma_f64 v[12:13], v[106:107], s[4:5], v[36:37]
	v_fma_f64 v[108:109], v[106:107], s[6:7], v[36:37]
	v_add_f64 v[36:37], v[14:15], v[146:147]
	v_add_f64 v[106:107], v[36:37], v[150:151]
	;; [unrolled: 1-line block ×3, first 2 shown]
	v_fma_f64 v[36:37], v[36:37], -0.5, v[14:15]
	v_fma_f64 v[14:15], v[86:87], s[6:7], v[36:37]
	v_fma_f64 v[110:111], v[86:87], s[4:5], v[36:37]
	v_add_f64 v[36:37], v[8:9], v[78:79]
	v_add_f64 v[86:87], v[80:81], -v[84:85]
	v_add_f64 v[112:113], v[36:37], v[82:83]
	v_add_f64 v[36:37], v[78:79], v[82:83]
	v_add_f64 v[78:79], v[78:79], -v[82:83]
	v_fma_f64 v[36:37], v[36:37], -0.5, v[8:9]
	v_fma_f64 v[8:9], v[86:87], s[4:5], v[36:37]
	v_fma_f64 v[116:117], v[86:87], s[6:7], v[36:37]
	v_add_f64 v[36:37], v[10:11], v[80:81]
	v_add_f64 v[114:115], v[36:37], v[84:85]
	v_add_f64 v[36:37], v[80:81], v[84:85]
	v_add_f64 v[80:81], v[72:73], -v[76:77]
	v_fma_f64 v[36:37], v[36:37], -0.5, v[10:11]
	v_fma_f64 v[10:11], v[78:79], s[6:7], v[36:37]
	v_fma_f64 v[118:119], v[78:79], s[4:5], v[36:37]
	v_add_f64 v[36:37], v[4:5], v[70:71]
	;; [unrolled: 7-line block ×5, first 2 shown]
	v_add_f64 v[72:73], v[36:37], v[68:69]
	v_add_f64 v[36:37], v[66:67], v[68:69]
	v_fma_f64 v[36:37], v[36:37], -0.5, v[2:3]
	v_fma_f64 v[2:3], v[62:63], s[6:7], v[36:37]
	v_fma_f64 v[76:77], v[62:63], s[4:5], v[36:37]
	buffer_load_dword v36, off, s[36:39], 0 offset:760 ; 4-byte Folded Reload
	s_waitcnt vmcnt(0)
	ds_write_b128 v36, v[20:23]
	ds_write_b128 v36, v[28:31] offset:432
	ds_write_b128 v36, v[24:27] offset:864
	buffer_load_dword v20, off, s[36:39], 0 offset:764 ; 4-byte Folded Reload
	s_waitcnt vmcnt(0)
	ds_write_b128 v20, v[32:35]
	ds_write_b128 v20, v[42:45] offset:432
	ds_write_b128 v20, v[38:41] offset:864
	;; [unrolled: 5-line block ×9, first 2 shown]
	s_waitcnt lgkmcnt(0)
	; wave barrier
	s_waitcnt lgkmcnt(0)
	ds_read_b128 v[28:31], v152
	ds_read_b128 v[24:27], v152 offset:9072
	ds_read_b128 v[32:35], v152 offset:18144
	;; [unrolled: 1-line block ×26, first 2 shown]
	buffer_load_dword v112, off, s[36:39], 0 offset:772 ; 4-byte Folded Reload
	buffer_load_dword v113, off, s[36:39], 0 offset:776 ; 4-byte Folded Reload
	buffer_load_dword v114, off, s[36:39], 0 offset:780 ; 4-byte Folded Reload
	buffer_load_dword v115, off, s[36:39], 0 offset:784 ; 4-byte Folded Reload
	buffer_load_dword v116, off, s[36:39], 0 offset:800 ; 4-byte Folded Reload
	buffer_load_dword v117, off, s[36:39], 0 offset:804 ; 4-byte Folded Reload
	buffer_load_dword v118, off, s[36:39], 0 offset:808 ; 4-byte Folded Reload
	buffer_load_dword v119, off, s[36:39], 0 offset:812 ; 4-byte Folded Reload
	s_waitcnt vmcnt(4) lgkmcnt(14)
	v_mul_f64 v[88:89], v[114:115], v[26:27]
	v_fma_f64 v[110:111], v[112:113], v[24:25], v[88:89]
	v_mul_f64 v[24:25], v[114:115], v[24:25]
	v_fma_f64 v[112:113], v[112:113], v[26:27], -v[24:25]
	s_waitcnt vmcnt(0)
	v_mul_f64 v[24:25], v[118:119], v[34:35]
	v_fma_f64 v[114:115], v[116:117], v[32:33], v[24:25]
	v_mul_f64 v[24:25], v[118:119], v[32:33]
	buffer_load_dword v118, off, s[36:39], 0 offset:844 ; 4-byte Folded Reload
	buffer_load_dword v119, off, s[36:39], 0 offset:848 ; 4-byte Folded Reload
	;; [unrolled: 1-line block ×4, first 2 shown]
	v_add_f64 v[26:27], v[110:111], v[114:115]
	v_fma_f64 v[34:35], v[116:117], v[34:35], -v[24:25]
	v_fma_f64 v[26:27], v[26:27], -0.5, v[28:29]
	s_waitcnt vmcnt(0)
	v_mul_f64 v[24:25], v[120:121], v[42:43]
	v_fma_f64 v[116:117], v[118:119], v[40:41], v[24:25]
	v_mul_f64 v[24:25], v[120:121], v[40:41]
	v_fma_f64 v[118:119], v[118:119], v[42:43], -v[24:25]
	buffer_load_dword v40, off, s[36:39], 0 offset:860 ; 4-byte Folded Reload
	buffer_load_dword v41, off, s[36:39], 0 offset:864 ; 4-byte Folded Reload
	buffer_load_dword v42, off, s[36:39], 0 offset:868 ; 4-byte Folded Reload
	buffer_load_dword v43, off, s[36:39], 0 offset:872 ; 4-byte Folded Reload
	s_waitcnt vmcnt(0)
	v_mul_f64 v[24:25], v[42:43], v[50:51]
	v_fma_f64 v[120:121], v[40:41], v[48:49], v[24:25]
	v_mul_f64 v[24:25], v[42:43], v[48:49]
	v_fma_f64 v[50:51], v[40:41], v[50:51], -v[24:25]
	buffer_load_dword v40, off, s[36:39], 0 offset:876 ; 4-byte Folded Reload
	buffer_load_dword v41, off, s[36:39], 0 offset:880 ; 4-byte Folded Reload
	;; [unrolled: 1-line block ×4, first 2 shown]
	s_waitcnt vmcnt(0)
	v_mul_f64 v[24:25], v[42:43], v[54:55]
	v_fma_f64 v[122:123], v[40:41], v[52:53], v[24:25]
	v_mul_f64 v[24:25], v[42:43], v[52:53]
	v_add_f64 v[52:53], v[116:117], -v[120:121]
	v_fma_f64 v[124:125], v[40:41], v[54:55], -v[24:25]
	buffer_load_dword v40, off, s[36:39], 0 offset:892 ; 4-byte Folded Reload
	buffer_load_dword v41, off, s[36:39], 0 offset:896 ; 4-byte Folded Reload
	;; [unrolled: 1-line block ×4, first 2 shown]
	s_waitcnt vmcnt(0)
	v_mul_f64 v[24:25], v[42:43], v[58:59]
	v_fma_f64 v[126:127], v[40:41], v[56:57], v[24:25]
	v_mul_f64 v[24:25], v[42:43], v[56:57]
	v_add_f64 v[54:55], v[122:123], v[126:127]
	v_fma_f64 v[58:59], v[40:41], v[58:59], -v[24:25]
	buffer_load_dword v40, off, s[36:39], 0 offset:908 ; 4-byte Folded Reload
	buffer_load_dword v41, off, s[36:39], 0 offset:912 ; 4-byte Folded Reload
	buffer_load_dword v42, off, s[36:39], 0 offset:916 ; 4-byte Folded Reload
	buffer_load_dword v43, off, s[36:39], 0 offset:920 ; 4-byte Folded Reload
	s_waitcnt vmcnt(0)
	v_mul_f64 v[24:25], v[42:43], v[62:63]
	v_fma_f64 v[128:129], v[40:41], v[60:61], v[24:25]
	v_mul_f64 v[24:25], v[42:43], v[60:61]
	v_add_f64 v[60:61], v[122:123], -v[126:127]
	v_fma_f64 v[130:131], v[40:41], v[62:63], -v[24:25]
	buffer_load_dword v40, off, s[36:39], 0 offset:924 ; 4-byte Folded Reload
	buffer_load_dword v41, off, s[36:39], 0 offset:928 ; 4-byte Folded Reload
	;; [unrolled: 1-line block ×4, first 2 shown]
	s_waitcnt vmcnt(0)
	v_mul_f64 v[24:25], v[42:43], v[66:67]
	v_fma_f64 v[132:133], v[40:41], v[64:65], v[24:25]
	v_mul_f64 v[24:25], v[42:43], v[64:65]
	v_add_f64 v[62:63], v[128:129], v[132:133]
	v_fma_f64 v[134:135], v[40:41], v[66:67], -v[24:25]
	buffer_load_dword v40, off, s[36:39], 0 offset:940 ; 4-byte Folded Reload
	buffer_load_dword v41, off, s[36:39], 0 offset:944 ; 4-byte Folded Reload
	buffer_load_dword v42, off, s[36:39], 0 offset:948 ; 4-byte Folded Reload
	buffer_load_dword v43, off, s[36:39], 0 offset:952 ; 4-byte Folded Reload
	s_waitcnt vmcnt(0) lgkmcnt(13)
	v_mul_f64 v[24:25], v[42:43], v[70:71]
	v_fma_f64 v[136:137], v[40:41], v[68:69], v[24:25]
	v_mul_f64 v[24:25], v[42:43], v[68:69]
	v_fma_f64 v[138:139], v[40:41], v[70:71], -v[24:25]
	buffer_load_dword v40, off, s[36:39], 0 offset:956 ; 4-byte Folded Reload
	buffer_load_dword v41, off, s[36:39], 0 offset:960 ; 4-byte Folded Reload
	buffer_load_dword v42, off, s[36:39], 0 offset:964 ; 4-byte Folded Reload
	buffer_load_dword v43, off, s[36:39], 0 offset:968 ; 4-byte Folded Reload
	s_waitcnt vmcnt(0) lgkmcnt(12)
	v_mul_f64 v[24:25], v[42:43], v[74:75]
	v_fma_f64 v[140:141], v[40:41], v[72:73], v[24:25]
	v_mul_f64 v[24:25], v[42:43], v[72:73]
	;; [unrolled: 9-line block ×9, first 2 shown]
	v_fma_f64 v[68:69], v[40:41], v[104:105], -v[24:25]
	buffer_load_dword v40, off, s[36:39], 0 offset:1084 ; 4-byte Folded Reload
	buffer_load_dword v41, off, s[36:39], 0 offset:1088 ; 4-byte Folded Reload
	;; [unrolled: 1-line block ×4, first 2 shown]
	s_waitcnt lgkmcnt(0)
	; wave barrier
	s_waitcnt vmcnt(0) lgkmcnt(0)
	v_mul_f64 v[24:25], v[42:43], v[108:109]
	v_fma_f64 v[66:67], v[40:41], v[106:107], v[24:25]
	v_mul_f64 v[24:25], v[42:43], v[106:107]
	v_add_f64 v[42:43], v[116:117], v[120:121]
	v_fma_f64 v[70:71], v[40:41], v[108:109], -v[24:25]
	v_add_f64 v[24:25], v[28:29], v[110:111]
	v_add_f64 v[28:29], v[112:113], -v[34:35]
	v_add_f64 v[40:41], v[110:111], -v[114:115]
	v_fma_f64 v[42:43], v[42:43], -0.5, v[44:45]
	v_add_f64 v[24:25], v[24:25], v[114:115]
	v_fma_f64 v[32:33], v[28:29], s[4:5], v[26:27]
	v_fma_f64 v[28:29], v[28:29], s[6:7], v[26:27]
	v_add_f64 v[26:27], v[30:31], v[112:113]
	v_add_f64 v[26:27], v[26:27], v[34:35]
	;; [unrolled: 1-line block ×3, first 2 shown]
	v_fma_f64 v[30:31], v[34:35], -0.5, v[30:31]
	v_fma_f64 v[34:35], v[40:41], s[6:7], v[30:31]
	v_fma_f64 v[30:31], v[40:41], s[4:5], v[30:31]
	ds_write_b128 v152, v[24:27]
	ds_write_b128 v152, v[32:35] offset:1296
	ds_write_b128 v152, v[28:31] offset:2592
	buffer_load_dword v24, off, s[36:39], 0 offset:456 ; 4-byte Folded Reload
	v_add_f64 v[40:41], v[44:45], v[116:117]
	v_add_f64 v[44:45], v[118:119], -v[50:51]
	v_add_f64 v[40:41], v[40:41], v[120:121]
	v_fma_f64 v[48:49], v[44:45], s[4:5], v[42:43]
	v_fma_f64 v[44:45], v[44:45], s[6:7], v[42:43]
	v_add_f64 v[42:43], v[46:47], v[118:119]
	v_add_f64 v[42:43], v[42:43], v[50:51]
	;; [unrolled: 1-line block ×3, first 2 shown]
	v_fma_f64 v[46:47], v[50:51], -0.5, v[46:47]
	v_fma_f64 v[50:51], v[52:53], s[6:7], v[46:47]
	v_fma_f64 v[46:47], v[52:53], s[4:5], v[46:47]
	s_waitcnt vmcnt(0)
	ds_write_b128 v24, v[40:43]
	ds_write_b128 v24, v[48:51] offset:1296
	ds_write_b128 v24, v[44:47] offset:2592
	buffer_load_dword v24, off, s[36:39], 0 offset:460 ; 4-byte Folded Reload
	v_add_f64 v[52:53], v[36:37], v[122:123]
	v_fma_f64 v[36:37], v[54:55], -0.5, v[36:37]
	v_add_f64 v[54:55], v[124:125], -v[58:59]
	v_add_f64 v[52:53], v[52:53], v[126:127]
	v_fma_f64 v[56:57], v[54:55], s[4:5], v[36:37]
	v_fma_f64 v[36:37], v[54:55], s[6:7], v[36:37]
	v_add_f64 v[54:55], v[38:39], v[124:125]
	v_add_f64 v[54:55], v[54:55], v[58:59]
	;; [unrolled: 1-line block ×3, first 2 shown]
	v_fma_f64 v[38:39], v[58:59], -0.5, v[38:39]
	v_fma_f64 v[58:59], v[60:61], s[6:7], v[38:39]
	v_fma_f64 v[38:39], v[60:61], s[4:5], v[38:39]
	s_waitcnt vmcnt(0)
	ds_write_b128 v24, v[52:55]
	ds_write_b128 v24, v[56:59] offset:1296
	ds_write_b128 v24, v[36:39] offset:2592
	buffer_load_dword v24, off, s[36:39], 0 offset:464 ; 4-byte Folded Reload
	v_add_f64 v[60:61], v[20:21], v[128:129]
	v_fma_f64 v[20:21], v[62:63], -0.5, v[20:21]
	v_add_f64 v[62:63], v[130:131], -v[134:135]
	v_add_f64 v[60:61], v[60:61], v[132:133]
	v_fma_f64 v[90:91], v[62:63], s[4:5], v[20:21]
	v_fma_f64 v[94:95], v[62:63], s[6:7], v[20:21]
	v_add_f64 v[20:21], v[22:23], v[130:131]
	v_add_f64 v[62:63], v[20:21], v[134:135]
	;; [unrolled: 1-line block ×3, first 2 shown]
	v_fma_f64 v[20:21], v[20:21], -0.5, v[22:23]
	v_add_f64 v[22:23], v[128:129], -v[132:133]
	v_fma_f64 v[92:93], v[22:23], s[6:7], v[20:21]
	v_fma_f64 v[96:97], v[22:23], s[4:5], v[20:21]
	s_waitcnt vmcnt(0)
	ds_write_b128 v24, v[60:63]
	ds_write_b128 v24, v[90:93] offset:1296
	ds_write_b128 v24, v[94:97] offset:2592
	buffer_load_dword v24, off, s[36:39], 0 offset:468 ; 4-byte Folded Reload
	v_add_f64 v[20:21], v[12:13], v[136:137]
	v_add_f64 v[22:23], v[68:69], v[70:71]
	;; [unrolled: 1-line block ×4, first 2 shown]
	v_fma_f64 v[22:23], v[22:23], -0.5, v[18:19]
	v_fma_f64 v[12:13], v[20:21], -0.5, v[12:13]
	v_add_f64 v[20:21], v[138:139], -v[142:143]
	v_fma_f64 v[102:103], v[20:21], s[4:5], v[12:13]
	v_fma_f64 v[106:107], v[20:21], s[6:7], v[12:13]
	v_add_f64 v[12:13], v[14:15], v[138:139]
	v_add_f64 v[20:21], v[68:69], -v[70:71]
	v_add_f64 v[100:101], v[12:13], v[142:143]
	v_add_f64 v[12:13], v[138:139], v[142:143]
	v_fma_f64 v[12:13], v[12:13], -0.5, v[14:15]
	v_add_f64 v[14:15], v[136:137], -v[140:141]
	v_fma_f64 v[104:105], v[14:15], s[6:7], v[12:13]
	v_fma_f64 v[108:109], v[14:15], s[4:5], v[12:13]
	s_waitcnt vmcnt(0)
	ds_write_b128 v24, v[98:101] offset:11664
	ds_write_b128 v24, v[102:105] offset:12960
	;; [unrolled: 1-line block ×3, first 2 shown]
	buffer_load_dword v24, off, s[36:39], 0 offset:488 ; 4-byte Folded Reload
	v_add_f64 v[12:13], v[8:9], v[88:89]
	v_add_f64 v[14:15], v[64:65], v[66:67]
	;; [unrolled: 1-line block ×4, first 2 shown]
	v_fma_f64 v[14:15], v[14:15], -0.5, v[16:17]
	v_fma_f64 v[8:9], v[12:13], -0.5, v[8:9]
	v_add_f64 v[12:13], v[144:145], -v[148:149]
	v_fma_f64 v[114:115], v[12:13], s[4:5], v[8:9]
	v_fma_f64 v[118:119], v[12:13], s[6:7], v[8:9]
	v_add_f64 v[8:9], v[10:11], v[144:145]
	v_add_f64 v[12:13], v[72:73], -v[76:77]
	v_add_f64 v[112:113], v[8:9], v[148:149]
	v_add_f64 v[8:9], v[144:145], v[148:149]
	v_fma_f64 v[8:9], v[8:9], -0.5, v[10:11]
	v_add_f64 v[10:11], v[88:89], -v[146:147]
	v_fma_f64 v[116:117], v[10:11], s[6:7], v[8:9]
	v_fma_f64 v[120:121], v[10:11], s[4:5], v[8:9]
	s_waitcnt vmcnt(0)
	ds_write_b128 v24, v[110:113]
	ds_write_b128 v24, v[114:117] offset:1296
	ds_write_b128 v24, v[118:121] offset:2592
	buffer_load_dword v24, off, s[36:39], 0 offset:492 ; 4-byte Folded Reload
	v_add_f64 v[8:9], v[0:1], v[80:81]
	v_add_f64 v[10:11], v[74:75], v[78:79]
	;; [unrolled: 1-line block ×4, first 2 shown]
	v_fma_f64 v[10:11], v[10:11], -0.5, v[6:7]
	v_fma_f64 v[0:1], v[8:9], -0.5, v[0:1]
	v_add_f64 v[8:9], v[82:83], -v[86:87]
	v_fma_f64 v[126:127], v[8:9], s[4:5], v[0:1]
	v_fma_f64 v[130:131], v[8:9], s[6:7], v[0:1]
	v_add_f64 v[0:1], v[2:3], v[82:83]
	v_add_f64 v[8:9], v[74:75], -v[78:79]
	v_add_f64 v[124:125], v[0:1], v[86:87]
	v_add_f64 v[0:1], v[82:83], v[86:87]
	v_fma_f64 v[0:1], v[0:1], -0.5, v[2:3]
	v_add_f64 v[2:3], v[80:81], -v[84:85]
	v_fma_f64 v[128:129], v[2:3], s[6:7], v[0:1]
	v_fma_f64 v[132:133], v[2:3], s[4:5], v[0:1]
	s_waitcnt vmcnt(0)
	ds_write_b128 v24, v[122:125]
	ds_write_b128 v24, v[126:129] offset:1296
	ds_write_b128 v24, v[130:133] offset:2592
	buffer_load_dword v24, off, s[36:39], 0 offset:496 ; 4-byte Folded Reload
	v_add_f64 v[2:3], v[72:73], v[76:77]
	v_add_f64 v[0:1], v[4:5], v[72:73]
	v_fma_f64 v[2:3], v[2:3], -0.5, v[4:5]
	v_add_f64 v[0:1], v[0:1], v[76:77]
	v_fma_f64 v[4:5], v[8:9], s[4:5], v[2:3]
	v_fma_f64 v[8:9], v[8:9], s[6:7], v[2:3]
	v_add_f64 v[2:3], v[6:7], v[74:75]
	v_fma_f64 v[6:7], v[12:13], s[6:7], v[10:11]
	v_fma_f64 v[10:11], v[12:13], s[4:5], v[10:11]
	;; [unrolled: 3-line block ×3, first 2 shown]
	v_add_f64 v[14:15], v[18:19], v[68:69]
	v_add_f64 v[64:65], v[64:65], -v[66:67]
	v_add_f64 v[2:3], v[2:3], v[78:79]
	s_waitcnt vmcnt(0)
	ds_write_b128 v24, v[0:3]
	ds_write_b128 v24, v[4:7] offset:1296
	ds_write_b128 v24, v[8:11] offset:2592
	buffer_load_dword v24, off, s[36:39], 0 offset:500 ; 4-byte Folded Reload
	v_add_f64 v[12:13], v[12:13], v[66:67]
	v_add_f64 v[14:15], v[14:15], v[70:71]
	v_fma_f64 v[18:19], v[64:65], s[6:7], v[22:23]
	v_fma_f64 v[22:23], v[64:65], s[4:5], v[22:23]
	s_waitcnt vmcnt(0)
	ds_write_b128 v24, v[12:15] offset:23328
	ds_write_b128 v24, v[16:19] offset:24624
	ds_write_b128 v24, v[20:23] offset:25920
	s_waitcnt lgkmcnt(0)
	; wave barrier
	s_waitcnt lgkmcnt(0)
	ds_read_b128 v[32:35], v152
	ds_read_b128 v[104:107], v152 offset:3888
	ds_read_b128 v[100:103], v152 offset:7776
	;; [unrolled: 1-line block ×20, first 2 shown]
	s_and_saveexec_b64 s[4:5], s[0:1]
	s_cbranch_execz .LBB0_7
; %bb.6:
	ds_read_b128 v[0:3], v152 offset:3024
	ds_read_b128 v[4:7], v152 offset:6912
	;; [unrolled: 1-line block ×7, first 2 shown]
	s_waitcnt lgkmcnt(0)
	buffer_store_dword v108, off, s[36:39], 0 ; 4-byte Folded Spill
	s_nop 0
	buffer_store_dword v109, off, s[36:39], 0 offset:4 ; 4-byte Folded Spill
	buffer_store_dword v110, off, s[36:39], 0 offset:8 ; 4-byte Folded Spill
	;; [unrolled: 1-line block ×3, first 2 shown]
.LBB0_7:
	s_or_b64 exec, exec, s[4:5]
	buffer_load_dword v110, off, s[36:39], 0 offset:568 ; 4-byte Folded Reload
	buffer_load_dword v111, off, s[36:39], 0 offset:572 ; 4-byte Folded Reload
	;; [unrolled: 1-line block ×4, first 2 shown]
	s_mov_b32 s6, 0x36b3c0b5
	s_mov_b32 s16, 0xe976ee23
	s_mov_b32 s7, 0x3fac98ee
	s_mov_b32 s17, 0x3fe11646
	s_mov_b32 s14, 0x37e14327
	s_mov_b32 s4, 0x429ad128
	s_mov_b32 s12, 0x5476071b
	s_mov_b32 s15, 0x3fe948f6
	s_mov_b32 s5, 0xbfebfeb5
	s_mov_b32 s13, 0x3fe77f67
	s_mov_b32 s26, 0xb247c609
	s_mov_b32 s20, 0x37c3f68c
	s_mov_b32 s18, s12
	s_mov_b32 s27, 0xbfd5d0dc
	s_mov_b32 s23, 0x3fd5d0dc
	s_mov_b32 s22, s26
	s_mov_b32 s21, 0xbfdc38aa
	s_waitcnt vmcnt(0) lgkmcnt(14)
	v_mul_f64 v[108:109], v[112:113], v[106:107]
	v_fma_f64 v[108:109], v[110:111], v[104:105], v[108:109]
	v_mul_f64 v[104:105], v[112:113], v[104:105]
	v_fma_f64 v[104:105], v[110:111], v[106:107], -v[104:105]
	buffer_load_dword v110, off, s[36:39], 0 offset:552 ; 4-byte Folded Reload
	buffer_load_dword v111, off, s[36:39], 0 offset:556 ; 4-byte Folded Reload
	buffer_load_dword v112, off, s[36:39], 0 offset:560 ; 4-byte Folded Reload
	buffer_load_dword v113, off, s[36:39], 0 offset:564 ; 4-byte Folded Reload
	s_waitcnt vmcnt(0)
	v_mul_f64 v[106:107], v[112:113], v[102:103]
	v_fma_f64 v[106:107], v[110:111], v[100:101], v[106:107]
	v_mul_f64 v[100:101], v[112:113], v[100:101]
	v_fma_f64 v[100:101], v[110:111], v[102:103], -v[100:101]
	buffer_load_dword v110, off, s[36:39], 0 offset:520 ; 4-byte Folded Reload
	buffer_load_dword v111, off, s[36:39], 0 offset:524 ; 4-byte Folded Reload
	buffer_load_dword v112, off, s[36:39], 0 offset:528 ; 4-byte Folded Reload
	buffer_load_dword v113, off, s[36:39], 0 offset:532 ; 4-byte Folded Reload
	s_waitcnt vmcnt(0)
	;; [unrolled: 9-line block ×5, first 2 shown]
	v_mul_f64 v[90:91], v[112:113], v[82:83]
	v_fma_f64 v[90:91], v[110:111], v[80:81], v[90:91]
	v_mul_f64 v[80:81], v[112:113], v[80:81]
	v_fma_f64 v[80:81], v[110:111], v[82:83], -v[80:81]
	buffer_load_dword v110, off, s[36:39], 0 offset:648 ; 4-byte Folded Reload
	buffer_load_dword v111, off, s[36:39], 0 offset:652 ; 4-byte Folded Reload
	buffer_load_dword v112, off, s[36:39], 0 offset:656 ; 4-byte Folded Reload
	buffer_load_dword v113, off, s[36:39], 0 offset:660 ; 4-byte Folded Reload
	s_waitcnt vmcnt(0) lgkmcnt(12)
	v_mul_f64 v[82:83], v[112:113], v[86:87]
	v_fma_f64 v[82:83], v[110:111], v[84:85], v[82:83]
	v_mul_f64 v[84:85], v[112:113], v[84:85]
	v_fma_f64 v[84:85], v[110:111], v[86:87], -v[84:85]
	buffer_load_dword v110, off, s[36:39], 0 offset:632 ; 4-byte Folded Reload
	buffer_load_dword v111, off, s[36:39], 0 offset:636 ; 4-byte Folded Reload
	buffer_load_dword v112, off, s[36:39], 0 offset:640 ; 4-byte Folded Reload
	buffer_load_dword v113, off, s[36:39], 0 offset:644 ; 4-byte Folded Reload
	s_waitcnt vmcnt(0) lgkmcnt(11)
	;; [unrolled: 9-line block ×6, first 2 shown]
	v_mul_f64 v[66:67], v[112:113], v[62:63]
	v_fma_f64 v[66:67], v[110:111], v[60:61], v[66:67]
	v_mul_f64 v[60:61], v[112:113], v[60:61]
	buffer_load_dword v112, off, s[36:39], 0 offset:816 ; 4-byte Folded Reload
	buffer_load_dword v113, off, s[36:39], 0 offset:820 ; 4-byte Folded Reload
	;; [unrolled: 1-line block ×8, first 2 shown]
	v_fma_f64 v[60:61], v[110:111], v[62:63], -v[60:61]
	s_waitcnt vmcnt(4) lgkmcnt(5)
	v_mul_f64 v[62:63], v[114:115], v[58:59]
	v_fma_f64 v[110:111], v[112:113], v[56:57], v[62:63]
	v_mul_f64 v[56:57], v[114:115], v[56:57]
	v_fma_f64 v[112:113], v[112:113], v[58:59], -v[56:57]
	s_waitcnt vmcnt(0) lgkmcnt(4)
	v_mul_f64 v[56:57], v[118:119], v[54:55]
	v_add_f64 v[58:59], v[92:93], -v[96:97]
	v_fma_f64 v[114:115], v[116:117], v[52:53], v[56:57]
	v_mul_f64 v[52:53], v[118:119], v[52:53]
	v_fma_f64 v[116:117], v[116:117], v[54:55], -v[52:53]
	buffer_load_dword v54, off, s[36:39], 0 offset:680 ; 4-byte Folded Reload
	buffer_load_dword v55, off, s[36:39], 0 offset:684 ; 4-byte Folded Reload
	;; [unrolled: 1-line block ×4, first 2 shown]
	s_waitcnt vmcnt(0) lgkmcnt(3)
	v_mul_f64 v[52:53], v[56:57], v[50:51]
	v_fma_f64 v[118:119], v[54:55], v[48:49], v[52:53]
	v_mul_f64 v[48:49], v[56:57], v[48:49]
	v_add_f64 v[56:57], v[98:99], -v[102:103]
	v_fma_f64 v[120:121], v[54:55], v[50:51], -v[48:49]
	buffer_load_dword v50, off, s[36:39], 0 offset:664 ; 4-byte Folded Reload
	buffer_load_dword v51, off, s[36:39], 0 offset:668 ; 4-byte Folded Reload
	buffer_load_dword v52, off, s[36:39], 0 offset:672 ; 4-byte Folded Reload
	buffer_load_dword v53, off, s[36:39], 0 offset:676 ; 4-byte Folded Reload
	v_add_f64 v[54:55], v[96:97], v[92:93]
	s_waitcnt vmcnt(0) lgkmcnt(2)
	v_mul_f64 v[48:49], v[52:53], v[46:47]
	v_fma_f64 v[122:123], v[50:51], v[44:45], v[48:49]
	v_mul_f64 v[44:45], v[52:53], v[44:45]
	v_add_f64 v[52:53], v[102:103], v[98:99]
	v_fma_f64 v[124:125], v[50:51], v[46:47], -v[44:45]
	buffer_load_dword v46, off, s[36:39], 0 offset:744 ; 4-byte Folded Reload
	buffer_load_dword v47, off, s[36:39], 0 offset:748 ; 4-byte Folded Reload
	;; [unrolled: 1-line block ×4, first 2 shown]
	v_add_f64 v[50:51], v[100:101], -v[88:89]
	v_add_f64 v[102:103], v[120:121], v[124:125]
	v_add_f64 v[98:99], v[58:59], -v[50:51]
	s_waitcnt vmcnt(0) lgkmcnt(1)
	v_mul_f64 v[44:45], v[48:49], v[42:43]
	v_fma_f64 v[126:127], v[46:47], v[40:41], v[44:45]
	v_mul_f64 v[40:41], v[48:49], v[40:41]
	v_add_f64 v[48:49], v[106:107], -v[94:95]
	v_fma_f64 v[128:129], v[46:47], v[42:43], -v[40:41]
	buffer_load_dword v42, off, s[36:39], 0 offset:712 ; 4-byte Folded Reload
	buffer_load_dword v43, off, s[36:39], 0 offset:716 ; 4-byte Folded Reload
	;; [unrolled: 1-line block ×4, first 2 shown]
	v_add_f64 v[46:47], v[100:101], v[88:89]
	v_add_f64 v[92:93], v[56:57], v[48:49]
	v_add_f64 v[96:97], v[56:57], -v[48:49]
	v_add_f64 v[100:101], v[118:119], v[122:123]
	s_waitcnt vmcnt(0) lgkmcnt(0)
	v_mul_f64 v[40:41], v[44:45], v[38:39]
	v_fma_f64 v[130:131], v[42:43], v[36:37], v[40:41]
	v_mul_f64 v[36:37], v[44:45], v[36:37]
	v_add_f64 v[44:45], v[106:107], v[94:95]
	v_add_f64 v[40:41], v[108:109], -v[90:91]
	v_add_f64 v[94:95], v[58:59], v[50:51]
	v_add_f64 v[106:107], v[124:125], -v[120:121]
	v_fma_f64 v[132:133], v[42:43], v[38:39], -v[36:37]
	v_add_f64 v[36:37], v[108:109], v[90:91]
	v_add_f64 v[38:39], v[104:105], v[80:81]
	v_add_f64 v[42:43], v[104:105], -v[80:81]
	v_add_f64 v[56:57], v[40:41], -v[56:57]
	;; [unrolled: 1-line block ×3, first 2 shown]
	v_add_f64 v[40:41], v[92:93], v[40:41]
	v_mul_f64 v[92:93], v[96:97], s[16:17]
	v_add_f64 v[104:105], v[122:123], -v[118:119]
	v_add_f64 v[62:63], v[44:45], v[36:37]
	v_add_f64 v[80:81], v[46:47], v[38:39]
	v_add_f64 v[88:89], v[44:45], -v[36:37]
	v_add_f64 v[90:91], v[46:47], -v[38:39]
	;; [unrolled: 1-line block ×6, first 2 shown]
	v_add_f64 v[52:53], v[52:53], v[62:63]
	v_add_f64 v[54:55], v[54:55], v[80:81]
	v_add_f64 v[58:59], v[42:43], -v[58:59]
	v_add_f64 v[50:51], v[50:51], -v[42:43]
	v_add_f64 v[42:43], v[94:95], v[42:43]
	v_mul_f64 v[94:95], v[98:99], s[16:17]
	v_mul_f64 v[62:63], v[44:45], s[6:7]
	;; [unrolled: 1-line block ×3, first 2 shown]
	v_add_f64 v[32:33], v[32:33], v[52:53]
	v_add_f64 v[34:35], v[34:35], v[54:55]
	v_mul_f64 v[36:37], v[36:37], s[14:15]
	v_mul_f64 v[38:39], v[38:39], s[14:15]
	;; [unrolled: 1-line block ×4, first 2 shown]
	v_fma_f64 v[62:63], v[88:89], s[12:13], -v[62:63]
	v_fma_f64 v[80:81], v[90:91], s[12:13], -v[80:81]
	v_fma_f64 v[52:53], v[52:53], s[24:25], v[32:33]
	v_fma_f64 v[54:55], v[54:55], s[24:25], v[34:35]
	v_fma_f64 v[48:49], v[48:49], s[4:5], -v[92:93]
	v_fma_f64 v[50:51], v[50:51], s[4:5], -v[94:95]
	v_fma_f64 v[44:45], v[44:45], s[6:7], v[36:37]
	v_fma_f64 v[46:47], v[46:47], s[6:7], v[38:39]
	v_fma_f64 v[36:37], v[88:89], s[18:19], -v[36:37]
	v_fma_f64 v[88:89], v[56:57], s[26:27], v[92:93]
	v_fma_f64 v[56:57], v[56:57], s[22:23], -v[96:97]
	v_add_f64 v[62:63], v[62:63], v[52:53]
	v_add_f64 v[80:81], v[80:81], v[54:55]
	v_fma_f64 v[96:97], v[40:41], s[20:21], v[48:49]
	v_fma_f64 v[48:49], v[42:43], s[20:21], v[50:51]
	v_fma_f64 v[38:39], v[90:91], s[18:19], -v[38:39]
	v_fma_f64 v[90:91], v[58:59], s[26:27], v[94:95]
	v_fma_f64 v[58:59], v[58:59], s[22:23], -v[98:99]
	v_add_f64 v[92:93], v[44:45], v[52:53]
	v_add_f64 v[94:95], v[46:47], v[54:55]
	;; [unrolled: 1-line block ×4, first 2 shown]
	v_add_f64 v[44:45], v[62:63], -v[48:49]
	v_add_f64 v[48:49], v[48:49], v[62:63]
	v_add_f64 v[50:51], v[80:81], -v[96:97]
	v_add_f64 v[62:63], v[82:83], v[66:67]
	v_add_f64 v[80:81], v[84:85], v[60:61]
	v_add_f64 v[66:67], v[82:83], -v[66:67]
	v_add_f64 v[60:61], v[84:85], -v[60:61]
	v_add_f64 v[82:83], v[86:87], v[70:71]
	v_add_f64 v[84:85], v[76:77], v[64:65]
	v_add_f64 v[54:55], v[38:39], v[54:55]
	v_fma_f64 v[88:89], v[40:41], s[20:21], v[88:89]
	v_fma_f64 v[90:91], v[42:43], s[20:21], v[90:91]
	;; [unrolled: 1-line block ×4, first 2 shown]
	v_add_f64 v[70:71], v[86:87], -v[70:71]
	v_add_f64 v[64:65], v[76:77], -v[64:65]
	v_add_f64 v[76:77], v[78:79], v[74:75]
	v_add_f64 v[86:87], v[72:73], v[68:69]
	v_add_f64 v[74:75], v[74:75], -v[78:79]
	v_add_f64 v[68:69], v[68:69], -v[72:73]
	v_add_f64 v[72:73], v[82:83], v[62:63]
	v_add_f64 v[78:79], v[84:85], v[80:81]
	;; [unrolled: 1-line block ×3, first 2 shown]
	v_add_f64 v[38:39], v[94:95], -v[88:89]
	v_add_f64 v[40:41], v[58:59], v[52:53]
	v_add_f64 v[42:43], v[54:55], -v[56:57]
	v_add_f64 v[52:53], v[52:53], -v[58:59]
	v_add_f64 v[54:55], v[56:57], v[54:55]
	v_add_f64 v[56:57], v[92:93], -v[90:91]
	v_add_f64 v[58:59], v[88:89], v[94:95]
	v_add_f64 v[88:89], v[82:83], -v[62:63]
	v_add_f64 v[90:91], v[84:85], -v[80:81]
	;; [unrolled: 1-line block ×6, first 2 shown]
	v_add_f64 v[92:93], v[74:75], v[70:71]
	v_add_f64 v[94:95], v[68:69], v[64:65]
	v_add_f64 v[96:97], v[74:75], -v[70:71]
	v_add_f64 v[98:99], v[68:69], -v[64:65]
	v_add_f64 v[70:71], v[70:71], -v[66:67]
	v_add_f64 v[64:65], v[64:65], -v[60:61]
	v_add_f64 v[72:73], v[76:77], v[72:73]
	v_add_f64 v[76:77], v[86:87], v[78:79]
	v_add_f64 v[74:75], v[66:67], -v[74:75]
	v_add_f64 v[68:69], v[60:61], -v[68:69]
	v_add_f64 v[66:67], v[92:93], v[66:67]
	v_add_f64 v[60:61], v[94:95], v[60:61]
	v_mul_f64 v[62:63], v[62:63], s[14:15]
	v_mul_f64 v[78:79], v[80:81], s[14:15]
	v_add_f64 v[28:29], v[28:29], v[72:73]
	v_add_f64 v[30:31], v[30:31], v[76:77]
	v_mul_f64 v[80:81], v[82:83], s[6:7]
	v_mul_f64 v[86:87], v[84:85], s[6:7]
	;; [unrolled: 1-line block ×6, first 2 shown]
	v_fma_f64 v[72:73], v[72:73], s[24:25], v[28:29]
	v_fma_f64 v[76:77], v[76:77], s[24:25], v[30:31]
	;; [unrolled: 1-line block ×4, first 2 shown]
	v_fma_f64 v[80:81], v[88:89], s[12:13], -v[80:81]
	v_fma_f64 v[86:87], v[90:91], s[12:13], -v[86:87]
	;; [unrolled: 1-line block ×4, first 2 shown]
	v_fma_f64 v[88:89], v[74:75], s[26:27], v[92:93]
	v_fma_f64 v[90:91], v[68:69], s[26:27], v[94:95]
	v_fma_f64 v[70:71], v[70:71], s[4:5], -v[92:93]
	v_fma_f64 v[64:65], v[64:65], s[4:5], -v[94:95]
	;; [unrolled: 1-line block ×4, first 2 shown]
	v_add_f64 v[82:83], v[82:83], v[72:73]
	v_add_f64 v[84:85], v[84:85], v[76:77]
	;; [unrolled: 1-line block ×6, first 2 shown]
	v_fma_f64 v[88:89], v[66:67], s[20:21], v[88:89]
	v_fma_f64 v[90:91], v[60:61], s[20:21], v[90:91]
	;; [unrolled: 1-line block ×6, first 2 shown]
	v_add_f64 v[98:99], v[116:117], -v[128:129]
	v_add_f64 v[62:63], v[84:85], -v[88:89]
	v_add_f64 v[60:61], v[90:91], v[82:83]
	v_add_f64 v[70:71], v[76:77], v[86:87]
	v_add_f64 v[68:69], v[80:81], -v[72:73]
	v_add_f64 v[66:67], v[78:79], -v[94:95]
	v_add_f64 v[64:65], v[96:97], v[92:93]
	v_add_f64 v[72:73], v[72:73], v[80:81]
	v_add_f64 v[74:75], v[86:87], -v[76:77]
	v_add_f64 v[76:77], v[92:93], -v[96:97]
	v_add_f64 v[78:79], v[94:95], v[78:79]
	v_add_f64 v[80:81], v[82:83], -v[90:91]
	v_add_f64 v[82:83], v[88:89], v[84:85]
	v_add_f64 v[84:85], v[110:111], v[130:131]
	;; [unrolled: 1-line block ×5, first 2 shown]
	v_add_f64 v[88:89], v[110:111], -v[130:131]
	v_add_f64 v[90:91], v[112:113], -v[132:133]
	;; [unrolled: 1-line block ×3, first 2 shown]
	v_add_f64 v[118:119], v[106:107], v[98:99]
	v_add_f64 v[122:123], v[106:107], -v[98:99]
	v_add_f64 v[108:109], v[92:93], v[84:85]
	v_add_f64 v[110:111], v[94:95], v[86:87]
	v_add_f64 v[112:113], v[92:93], -v[84:85]
	v_add_f64 v[114:115], v[94:95], -v[86:87]
	;; [unrolled: 1-line block ×6, first 2 shown]
	v_add_f64 v[116:117], v[104:105], v[96:97]
	v_add_f64 v[120:121], v[104:105], -v[96:97]
	v_add_f64 v[96:97], v[96:97], -v[88:89]
	;; [unrolled: 1-line block ×3, first 2 shown]
	v_add_f64 v[100:101], v[100:101], v[108:109]
	v_add_f64 v[102:103], v[102:103], v[110:111]
	v_add_f64 v[104:105], v[88:89], -v[104:105]
	v_add_f64 v[106:107], v[90:91], -v[106:107]
	v_add_f64 v[88:89], v[116:117], v[88:89]
	v_add_f64 v[90:91], v[118:119], v[90:91]
	v_mul_f64 v[84:85], v[84:85], s[14:15]
	v_mul_f64 v[86:87], v[86:87], s[14:15]
	v_add_f64 v[24:25], v[24:25], v[100:101]
	v_add_f64 v[26:27], v[26:27], v[102:103]
	v_mul_f64 v[108:109], v[92:93], s[6:7]
	v_mul_f64 v[110:111], v[94:95], s[6:7]
	;; [unrolled: 1-line block ×6, first 2 shown]
	v_fma_f64 v[100:101], v[100:101], s[24:25], v[24:25]
	v_fma_f64 v[102:103], v[102:103], s[24:25], v[26:27]
	;; [unrolled: 1-line block ×4, first 2 shown]
	v_fma_f64 v[108:109], v[112:113], s[12:13], -v[108:109]
	v_fma_f64 v[110:111], v[114:115], s[12:13], -v[110:111]
	;; [unrolled: 1-line block ×4, first 2 shown]
	v_fma_f64 v[112:113], v[104:105], s[26:27], v[116:117]
	v_fma_f64 v[114:115], v[106:107], s[26:27], v[118:119]
	v_fma_f64 v[96:97], v[96:97], s[4:5], -v[116:117]
	v_fma_f64 v[98:99], v[98:99], s[4:5], -v[118:119]
	;; [unrolled: 1-line block ×4, first 2 shown]
	v_add_f64 v[116:117], v[92:93], v[100:101]
	v_add_f64 v[118:119], v[94:95], v[102:103]
	;; [unrolled: 1-line block ×6, first 2 shown]
	v_fma_f64 v[112:113], v[88:89], s[20:21], v[112:113]
	v_fma_f64 v[114:115], v[90:91], s[20:21], v[114:115]
	;; [unrolled: 1-line block ×6, first 2 shown]
	v_add_f64 v[86:87], v[118:119], -v[112:113]
	v_add_f64 v[84:85], v[114:115], v[116:117]
	v_add_f64 v[94:95], v[120:121], v[110:111]
	v_add_f64 v[92:93], v[108:109], -v[96:97]
	v_add_f64 v[90:91], v[102:103], -v[104:105]
	v_add_f64 v[88:89], v[106:107], v[100:101]
	v_add_f64 v[96:97], v[96:97], v[108:109]
	v_add_f64 v[98:99], v[110:111], -v[120:121]
	v_add_f64 v[100:101], v[100:101], -v[106:107]
	v_add_f64 v[102:103], v[104:105], v[102:103]
	v_add_f64 v[104:105], v[116:117], -v[114:115]
	v_add_f64 v[106:107], v[112:113], v[118:119]
	ds_write_b128 v152, v[32:35]
	ds_write_b128 v152, v[36:39] offset:3888
	ds_write_b128 v152, v[40:43] offset:7776
	;; [unrolled: 1-line block ×20, first 2 shown]
	s_and_saveexec_b64 s[28:29], s[0:1]
	s_cbranch_execz .LBB0_9
; %bb.8:
	buffer_load_dword v44, off, s[36:39], 0 offset:1656 ; 4-byte Folded Reload
	buffer_load_dword v45, off, s[36:39], 0 offset:1660 ; 4-byte Folded Reload
	;; [unrolled: 1-line block ×16, first 2 shown]
	buffer_load_dword v66, off, s[36:39], 0 ; 4-byte Folded Reload
	buffer_load_dword v67, off, s[36:39], 0 offset:4 ; 4-byte Folded Reload
	buffer_load_dword v68, off, s[36:39], 0 offset:8 ; 4-byte Folded Reload
	;; [unrolled: 1-line block ×3, first 2 shown]
	s_waitcnt vmcnt(16)
	v_mul_f64 v[24:25], v[46:47], v[18:19]
	s_waitcnt vmcnt(12)
	v_mul_f64 v[26:27], v[50:51], v[14:15]
	;; [unrolled: 2-line block ×4, first 2 shown]
	v_mul_f64 v[32:33], v[62:63], v[66:67]
	buffer_load_dword v62, off, s[36:39], 0 offset:1736 ; 4-byte Folded Reload
	buffer_load_dword v63, off, s[36:39], 0 offset:1740 ; 4-byte Folded Reload
	;; [unrolled: 1-line block ×8, first 2 shown]
	v_mul_f64 v[28:29], v[58:59], v[6:7]
	v_fma_f64 v[24:25], v[44:45], v[16:17], v[24:25]
	v_fma_f64 v[26:27], v[48:49], v[12:13], v[26:27]
	v_fma_f64 v[6:7], v[56:57], v[6:7], -v[34:35]
	v_mul_f64 v[12:13], v[50:51], v[12:13]
	v_fma_f64 v[32:33], v[60:61], v[68:69], -v[32:33]
	v_mul_f64 v[16:17], v[46:47], v[16:17]
	v_fma_f64 v[4:5], v[56:57], v[4:5], v[28:29]
	v_fma_f64 v[28:29], v[60:61], v[66:67], v[30:31]
	v_add_f64 v[30:31], v[24:25], -v[26:27]
	v_add_f64 v[24:25], v[26:27], v[24:25]
	v_fma_f64 v[12:13], v[48:49], v[14:15], -v[12:13]
	v_fma_f64 v[14:15], v[44:45], v[18:19], -v[16:17]
	v_add_f64 v[16:17], v[6:7], v[32:33]
	s_waitcnt vmcnt(4)
	v_mul_f64 v[36:37], v[64:65], v[20:21]
	s_waitcnt vmcnt(0)
	v_mul_f64 v[38:39], v[54:55], v[8:9]
	v_mul_f64 v[40:41], v[54:55], v[10:11]
	;; [unrolled: 1-line block ×3, first 2 shown]
	v_fma_f64 v[22:23], v[62:63], v[22:23], -v[36:37]
	v_fma_f64 v[10:11], v[52:53], v[10:11], -v[38:39]
	v_fma_f64 v[8:9], v[52:53], v[8:9], v[40:41]
	v_fma_f64 v[20:21], v[62:63], v[20:21], v[42:43]
	v_add_f64 v[36:37], v[12:13], v[14:15]
	v_add_f64 v[40:41], v[4:5], -v[28:29]
	v_add_f64 v[4:5], v[4:5], v[28:29]
	v_add_f64 v[12:13], v[14:15], -v[12:13]
	v_add_f64 v[14:15], v[6:7], -v[32:33]
	v_add_f64 v[18:19], v[10:11], v[22:23]
	v_add_f64 v[10:11], v[10:11], -v[22:23]
	;; [unrolled: 3-line block ×4, first 2 shown]
	v_add_f64 v[42:43], v[30:31], -v[34:35]
	v_add_f64 v[44:45], v[8:9], v[4:5]
	v_mul_f64 v[20:21], v[20:21], s[14:15]
	v_add_f64 v[22:23], v[34:35], -v[40:41]
	v_add_f64 v[48:49], v[10:11], -v[14:15]
	;; [unrolled: 1-line block ×3, first 2 shown]
	v_add_f64 v[28:29], v[36:37], v[38:39]
	v_add_f64 v[38:39], v[40:41], -v[30:31]
	v_mul_f64 v[42:43], v[42:43], s[16:17]
	v_add_f64 v[30:31], v[30:31], v[34:35]
	v_add_f64 v[36:37], v[24:25], v[44:45]
	v_fma_f64 v[46:47], v[26:27], s[6:7], v[20:21]
	v_add_f64 v[24:25], v[24:25], -v[8:9]
	v_mul_f64 v[18:19], v[26:27], s[6:7]
	v_add_f64 v[2:3], v[2:3], v[28:29]
	v_mul_f64 v[26:27], v[6:7], s[14:15]
	v_fma_f64 v[44:45], v[38:39], s[26:27], v[42:43]
	v_add_f64 v[30:31], v[30:31], v[40:41]
	v_add_f64 v[40:41], v[12:13], -v[10:11]
	v_add_f64 v[0:1], v[0:1], v[36:37]
	v_add_f64 v[10:11], v[12:13], v[10:11]
	v_add_f64 v[4:5], v[8:9], -v[4:5]
	v_fma_f64 v[28:29], v[28:29], s[24:25], v[2:3]
	v_mul_f64 v[8:9], v[48:49], s[4:5]
	v_fma_f64 v[20:21], v[16:17], s[18:19], -v[20:21]
	v_fma_f64 v[32:33], v[30:31], s[20:21], v[44:45]
	v_mul_f64 v[44:45], v[22:23], s[4:5]
	v_mul_f64 v[40:41], v[40:41], s[16:17]
	v_fma_f64 v[36:37], v[36:37], s[24:25], v[0:1]
	v_add_f64 v[10:11], v[10:11], v[14:15]
	v_add_f64 v[34:35], v[46:47], v[28:29]
	v_add_f64 v[46:47], v[14:15], -v[12:13]
	v_mul_f64 v[12:13], v[24:25], s[6:7]
	v_fma_f64 v[24:25], v[24:25], s[6:7], v[26:27]
	v_fma_f64 v[38:39], v[38:39], s[22:23], -v[44:45]
	v_fma_f64 v[14:15], v[16:17], s[12:13], -v[18:19]
	;; [unrolled: 1-line block ×4, first 2 shown]
	v_add_f64 v[20:21], v[20:21], v[28:29]
	v_fma_f64 v[44:45], v[46:47], s[26:27], v[40:41]
	v_fma_f64 v[8:9], v[46:47], s[22:23], -v[8:9]
	v_fma_f64 v[4:5], v[4:5], s[12:13], -v[12:13]
	;; [unrolled: 1-line block ×3, first 2 shown]
	v_fma_f64 v[22:23], v[30:31], s[20:21], v[38:39]
	v_add_f64 v[26:27], v[14:15], v[28:29]
	v_fma_f64 v[16:17], v[30:31], s[20:21], v[16:17]
	v_add_f64 v[28:29], v[24:25], v[36:37]
	;; [unrolled: 2-line block ×5, first 2 shown]
	v_add_f64 v[14:15], v[26:27], -v[16:17]
	v_add_f64 v[18:19], v[16:17], v[26:27]
	v_add_f64 v[26:27], v[34:35], -v[32:33]
	v_add_f64 v[24:25], v[30:31], v[28:29]
	;; [unrolled: 2-line block ×5, first 2 shown]
	v_add_f64 v[4:5], v[28:29], -v[30:31]
	ds_write_b128 v152, v[0:3] offset:3024
	ds_write_b128 v152, v[24:27] offset:6912
	;; [unrolled: 1-line block ×7, first 2 shown]
.LBB0_9:
	s_or_b64 exec, exec, s[28:29]
	s_waitcnt lgkmcnt(0)
	; wave barrier
	s_waitcnt lgkmcnt(0)
	ds_read_b128 v[4:7], v152
	ds_read_b128 v[0:3], v152 offset:1008
	buffer_load_dword v17, off, s[36:39], 0 offset:216 ; 4-byte Folded Reload
	buffer_load_dword v18, off, s[36:39], 0 offset:220 ; 4-byte Folded Reload
	;; [unrolled: 1-line block ×6, first 2 shown]
	v_mov_b32_e32 v24, s3
	s_mul_hi_u32 s3, s8, 0x2370
	s_waitcnt vmcnt(2) lgkmcnt(1)
	v_mul_f64 v[10:11], v[19:20], v[6:7]
	s_waitcnt vmcnt(1)
	v_mov_b32_e32 v16, v8
	v_mad_u64_u32 v[14:15], s[0:1], s10, v16, 0
	v_mul_f64 v[12:13], v[19:20], v[4:5]
	s_waitcnt vmcnt(0)
	v_mad_u64_u32 v[8:9], s[0:1], s8, v153, 0
	v_fma_f64 v[4:5], v[17:18], v[4:5], v[10:11]
	v_mad_u64_u32 v[10:11], s[0:1], s11, v16, v[15:16]
	s_mov_b32 s0, 0x9c850ab
	v_fma_f64 v[6:7], v[17:18], v[6:7], -v[12:13]
	v_mov_b32_e32 v15, v10
	v_mad_u64_u32 v[9:10], s[4:5], s9, v153, v[9:10]
	ds_read_b128 v[10:13], v152 offset:9072
	v_lshlrev_b64 v[18:19], 4, v[14:15]
	ds_read_b128 v[14:17], v152 offset:8064
	buffer_load_dword v26, off, s[36:39], 0 offset:80 ; 4-byte Folded Reload
	buffer_load_dword v27, off, s[36:39], 0 offset:84 ; 4-byte Folded Reload
	;; [unrolled: 1-line block ×4, first 2 shown]
	s_mov_b32 s1, 0x3f434393
	v_mul_f64 v[4:5], v[4:5], s[0:1]
	v_mul_f64 v[6:7], v[6:7], s[0:1]
	v_add_co_u32_e32 v25, vcc, s2, v18
	v_addc_co_u32_e32 v24, vcc, v24, v19, vcc
	v_lshlrev_b64 v[18:19], 4, v[8:9]
	s_mul_i32 s2, s9, 0x2370
	s_add_i32 s2, s3, s2
	s_mul_i32 s3, s8, 0x2370
	s_mul_hi_u32 s5, s8, 0xffffbd10
	s_mul_i32 s4, s9, 0xffffbd10
	s_sub_i32 s5, s5, s8
	s_add_i32 s5, s5, s4
	s_mul_i32 s4, s8, 0xffffbd10
	s_waitcnt vmcnt(0) lgkmcnt(1)
	v_mul_f64 v[20:21], v[28:29], v[12:13]
	v_mul_f64 v[22:23], v[28:29], v[10:11]
	v_mov_b32_e32 v28, s2
	v_fma_f64 v[20:21], v[26:27], v[10:11], v[20:21]
	v_fma_f64 v[12:13], v[26:27], v[12:13], -v[22:23]
	v_add_co_u32_e32 v22, vcc, v25, v18
	v_addc_co_u32_e32 v23, vcc, v24, v19, vcc
	global_store_dwordx4 v[22:23], v[4:7], off
	ds_read_b128 v[8:11], v152 offset:18144
	v_mul_f64 v[4:5], v[20:21], s[0:1]
	ds_read_b128 v[18:21], v152 offset:19152
	buffer_load_dword v29, off, s[36:39], 0 offset:16 ; 4-byte Folded Reload
	buffer_load_dword v30, off, s[36:39], 0 offset:20 ; 4-byte Folded Reload
	;; [unrolled: 1-line block ×4, first 2 shown]
	v_mul_f64 v[6:7], v[12:13], s[0:1]
	v_add_co_u32_e32 v22, vcc, s3, v22
	v_addc_co_u32_e32 v23, vcc, v23, v28, vcc
	s_waitcnt vmcnt(0) lgkmcnt(1)
	v_mul_f64 v[24:25], v[31:32], v[10:11]
	v_mul_f64 v[26:27], v[31:32], v[8:9]
	v_fma_f64 v[8:9], v[29:30], v[8:9], v[24:25]
	v_fma_f64 v[10:11], v[29:30], v[10:11], -v[26:27]
	buffer_load_dword v29, off, s[36:39], 0 offset:32 ; 4-byte Folded Reload
	buffer_load_dword v30, off, s[36:39], 0 offset:36 ; 4-byte Folded Reload
	;; [unrolled: 1-line block ×4, first 2 shown]
	v_mov_b32_e32 v26, s2
	global_store_dwordx4 v[22:23], v[4:7], off
	s_waitcnt vmcnt(1)
	v_mul_f64 v[12:13], v[31:32], v[2:3]
	v_mul_f64 v[24:25], v[31:32], v[0:1]
	;; [unrolled: 1-line block ×4, first 2 shown]
	v_fma_f64 v[8:9], v[29:30], v[0:1], v[12:13]
	v_fma_f64 v[10:11], v[29:30], v[2:3], -v[24:25]
	v_add_co_u32_e32 v12, vcc, s3, v22
	v_addc_co_u32_e32 v13, vcc, v23, v26, vcc
	global_store_dwordx4 v[12:13], v[4:7], off
	ds_read_b128 v[0:3], v152 offset:10080
	v_mul_f64 v[4:5], v[8:9], s[0:1]
	v_mul_f64 v[6:7], v[10:11], s[0:1]
	ds_read_b128 v[8:11], v152 offset:11088
	buffer_load_dword v27, off, s[36:39], 0 offset:48 ; 4-byte Folded Reload
	buffer_load_dword v28, off, s[36:39], 0 offset:52 ; 4-byte Folded Reload
	;; [unrolled: 1-line block ×4, first 2 shown]
	v_mov_b32_e32 v26, s5
	v_add_co_u32_e32 v12, vcc, s4, v12
	v_addc_co_u32_e32 v13, vcc, v13, v26, vcc
	s_waitcnt vmcnt(0) lgkmcnt(1)
	v_mul_f64 v[22:23], v[29:30], v[2:3]
	v_mul_f64 v[24:25], v[29:30], v[0:1]
	v_fma_f64 v[0:1], v[27:28], v[0:1], v[22:23]
	v_fma_f64 v[2:3], v[27:28], v[2:3], -v[24:25]
	buffer_load_dword v27, off, s[36:39], 0 offset:64 ; 4-byte Folded Reload
	buffer_load_dword v28, off, s[36:39], 0 offset:68 ; 4-byte Folded Reload
	buffer_load_dword v29, off, s[36:39], 0 offset:72 ; 4-byte Folded Reload
	buffer_load_dword v30, off, s[36:39], 0 offset:76 ; 4-byte Folded Reload
	v_mul_f64 v[0:1], v[0:1], s[0:1]
	global_store_dwordx4 v[12:13], v[4:7], off
	ds_read_b128 v[4:7], v152 offset:2016
	v_mul_f64 v[2:3], v[2:3], s[0:1]
	v_add_co_u32_e32 v12, vcc, s3, v12
	s_waitcnt vmcnt(1)
	v_mul_f64 v[22:23], v[29:30], v[20:21]
	v_mul_f64 v[24:25], v[29:30], v[18:19]
	v_mov_b32_e32 v30, s2
	v_addc_co_u32_e32 v13, vcc, v13, v30, vcc
	v_fma_f64 v[22:23], v[27:28], v[18:19], v[22:23]
	v_fma_f64 v[24:25], v[27:28], v[20:21], -v[24:25]
	ds_read_b128 v[18:21], v152 offset:3024
	buffer_load_dword v31, off, s[36:39], 0 offset:160 ; 4-byte Folded Reload
	buffer_load_dword v32, off, s[36:39], 0 offset:164 ; 4-byte Folded Reload
	;; [unrolled: 1-line block ×4, first 2 shown]
	s_waitcnt vmcnt(0) lgkmcnt(1)
	v_mul_f64 v[26:27], v[33:34], v[6:7]
	v_mul_f64 v[28:29], v[33:34], v[4:5]
	global_store_dwordx4 v[12:13], v[0:3], off
	v_add_co_u32_e32 v12, vcc, s3, v12
	v_mul_f64 v[0:1], v[22:23], s[0:1]
	v_mul_f64 v[2:3], v[24:25], s[0:1]
	v_addc_co_u32_e32 v13, vcc, v13, v30, vcc
	v_fma_f64 v[4:5], v[31:32], v[4:5], v[26:27]
	v_fma_f64 v[6:7], v[31:32], v[6:7], -v[28:29]
	buffer_load_dword v26, off, s[36:39], 0 offset:96 ; 4-byte Folded Reload
	buffer_load_dword v27, off, s[36:39], 0 offset:100 ; 4-byte Folded Reload
	;; [unrolled: 1-line block ×4, first 2 shown]
	v_mov_b32_e32 v30, s5
	global_store_dwordx4 v[12:13], v[0:3], off
	v_add_co_u32_e32 v12, vcc, s4, v12
	v_mul_f64 v[0:1], v[4:5], s[0:1]
	v_mul_f64 v[2:3], v[6:7], s[0:1]
	ds_read_b128 v[4:7], v152 offset:20160
	v_addc_co_u32_e32 v13, vcc, v13, v30, vcc
	v_mov_b32_e32 v30, s2
	s_waitcnt vmcnt(1)
	v_mul_f64 v[22:23], v[28:29], v[10:11]
	v_mul_f64 v[24:25], v[28:29], v[8:9]
	v_fma_f64 v[22:23], v[26:27], v[8:9], v[22:23]
	v_fma_f64 v[24:25], v[26:27], v[10:11], -v[24:25]
	ds_read_b128 v[8:11], v152 offset:21168
	buffer_load_dword v31, off, s[36:39], 0 offset:112 ; 4-byte Folded Reload
	buffer_load_dword v32, off, s[36:39], 0 offset:116 ; 4-byte Folded Reload
	;; [unrolled: 1-line block ×4, first 2 shown]
	s_waitcnt vmcnt(0) lgkmcnt(1)
	v_mul_f64 v[26:27], v[33:34], v[6:7]
	v_mul_f64 v[28:29], v[33:34], v[4:5]
	global_store_dwordx4 v[12:13], v[0:3], off
	v_add_co_u32_e32 v12, vcc, s3, v12
	v_mul_f64 v[0:1], v[22:23], s[0:1]
	v_mul_f64 v[2:3], v[24:25], s[0:1]
	v_addc_co_u32_e32 v13, vcc, v13, v30, vcc
	v_fma_f64 v[4:5], v[31:32], v[4:5], v[26:27]
	v_fma_f64 v[6:7], v[31:32], v[6:7], -v[28:29]
	buffer_load_dword v26, off, s[36:39], 0 offset:128 ; 4-byte Folded Reload
	buffer_load_dword v27, off, s[36:39], 0 offset:132 ; 4-byte Folded Reload
	;; [unrolled: 1-line block ×4, first 2 shown]
	s_waitcnt vmcnt(0)
	v_mul_f64 v[22:23], v[28:29], v[20:21]
	v_mul_f64 v[24:25], v[28:29], v[18:19]
	global_store_dwordx4 v[12:13], v[0:3], off
	v_add_co_u32_e32 v12, vcc, s3, v12
	v_mul_f64 v[0:1], v[4:5], s[0:1]
	v_mul_f64 v[2:3], v[6:7], s[0:1]
	ds_read_b128 v[4:7], v152 offset:12096
	v_fma_f64 v[22:23], v[26:27], v[18:19], v[22:23]
	v_fma_f64 v[24:25], v[26:27], v[20:21], -v[24:25]
	ds_read_b128 v[18:21], v152 offset:13104
	buffer_load_dword v31, off, s[36:39], 0 offset:144 ; 4-byte Folded Reload
	buffer_load_dword v32, off, s[36:39], 0 offset:148 ; 4-byte Folded Reload
	;; [unrolled: 1-line block ×4, first 2 shown]
	v_addc_co_u32_e32 v13, vcc, v13, v30, vcc
	global_store_dwordx4 v[12:13], v[0:3], off
	v_mov_b32_e32 v30, s5
	v_mul_f64 v[0:1], v[22:23], s[0:1]
	v_mul_f64 v[2:3], v[24:25], s[0:1]
	v_add_co_u32_e32 v12, vcc, s4, v12
	v_addc_co_u32_e32 v13, vcc, v13, v30, vcc
	v_mov_b32_e32 v30, s2
	s_waitcnt vmcnt(1) lgkmcnt(1)
	v_mul_f64 v[26:27], v[33:34], v[6:7]
	v_mul_f64 v[28:29], v[33:34], v[4:5]
	v_fma_f64 v[4:5], v[31:32], v[4:5], v[26:27]
	v_fma_f64 v[6:7], v[31:32], v[6:7], -v[28:29]
	buffer_load_dword v26, off, s[36:39], 0 offset:176 ; 4-byte Folded Reload
	buffer_load_dword v27, off, s[36:39], 0 offset:180 ; 4-byte Folded Reload
	;; [unrolled: 1-line block ×4, first 2 shown]
	s_waitcnt vmcnt(0)
	v_mul_f64 v[22:23], v[28:29], v[10:11]
	v_mul_f64 v[24:25], v[28:29], v[8:9]
	global_store_dwordx4 v[12:13], v[0:3], off
	v_add_co_u32_e32 v12, vcc, s3, v12
	v_mul_f64 v[0:1], v[4:5], s[0:1]
	v_mul_f64 v[2:3], v[6:7], s[0:1]
	ds_read_b128 v[4:7], v152 offset:4032
	v_fma_f64 v[22:23], v[26:27], v[8:9], v[22:23]
	v_fma_f64 v[24:25], v[26:27], v[10:11], -v[24:25]
	ds_read_b128 v[8:11], v152 offset:5040
	buffer_load_dword v31, off, s[36:39], 0 offset:408 ; 4-byte Folded Reload
	buffer_load_dword v32, off, s[36:39], 0 offset:412 ; 4-byte Folded Reload
	;; [unrolled: 1-line block ×4, first 2 shown]
	v_addc_co_u32_e32 v13, vcc, v13, v30, vcc
	global_store_dwordx4 v[12:13], v[0:3], off
	v_add_co_u32_e32 v12, vcc, s3, v12
	v_mul_f64 v[0:1], v[22:23], s[0:1]
	v_mul_f64 v[2:3], v[24:25], s[0:1]
	v_addc_co_u32_e32 v13, vcc, v13, v30, vcc
	v_mov_b32_e32 v30, s5
	s_waitcnt vmcnt(1) lgkmcnt(1)
	v_mul_f64 v[26:27], v[33:34], v[6:7]
	v_mul_f64 v[28:29], v[33:34], v[4:5]
	v_fma_f64 v[4:5], v[31:32], v[4:5], v[26:27]
	v_fma_f64 v[6:7], v[31:32], v[6:7], -v[28:29]
	buffer_load_dword v26, off, s[36:39], 0 offset:440 ; 4-byte Folded Reload
	buffer_load_dword v27, off, s[36:39], 0 offset:444 ; 4-byte Folded Reload
	;; [unrolled: 1-line block ×4, first 2 shown]
	s_waitcnt vmcnt(0)
	v_mul_f64 v[22:23], v[28:29], v[20:21]
	v_mul_f64 v[24:25], v[28:29], v[18:19]
	global_store_dwordx4 v[12:13], v[0:3], off
	v_add_co_u32_e32 v12, vcc, s4, v12
	v_mul_f64 v[0:1], v[4:5], s[0:1]
	v_mul_f64 v[2:3], v[6:7], s[0:1]
	ds_read_b128 v[4:7], v152 offset:22176
	v_fma_f64 v[22:23], v[26:27], v[18:19], v[22:23]
	v_fma_f64 v[24:25], v[26:27], v[20:21], -v[24:25]
	ds_read_b128 v[18:21], v152 offset:23184
	buffer_load_dword v31, off, s[36:39], 0 offset:328 ; 4-byte Folded Reload
	buffer_load_dword v32, off, s[36:39], 0 offset:332 ; 4-byte Folded Reload
	;; [unrolled: 1-line block ×4, first 2 shown]
	v_addc_co_u32_e32 v13, vcc, v13, v30, vcc
	global_store_dwordx4 v[12:13], v[0:3], off
	v_mov_b32_e32 v30, s2
	v_mul_f64 v[0:1], v[22:23], s[0:1]
	v_mul_f64 v[2:3], v[24:25], s[0:1]
	v_add_co_u32_e32 v12, vcc, s3, v12
	v_addc_co_u32_e32 v13, vcc, v13, v30, vcc
	s_waitcnt vmcnt(1) lgkmcnt(1)
	v_mul_f64 v[26:27], v[33:34], v[6:7]
	v_mul_f64 v[28:29], v[33:34], v[4:5]
	v_fma_f64 v[4:5], v[31:32], v[4:5], v[26:27]
	v_fma_f64 v[6:7], v[31:32], v[6:7], -v[28:29]
	buffer_load_dword v26, off, s[36:39], 0 offset:424 ; 4-byte Folded Reload
	buffer_load_dword v27, off, s[36:39], 0 offset:428 ; 4-byte Folded Reload
	;; [unrolled: 1-line block ×4, first 2 shown]
	s_waitcnt vmcnt(0)
	v_mul_f64 v[22:23], v[28:29], v[10:11]
	v_mul_f64 v[24:25], v[28:29], v[8:9]
	global_store_dwordx4 v[12:13], v[0:3], off
	v_add_co_u32_e32 v12, vcc, s3, v12
	v_mul_f64 v[0:1], v[4:5], s[0:1]
	v_mul_f64 v[2:3], v[6:7], s[0:1]
	ds_read_b128 v[4:7], v152 offset:14112
	v_fma_f64 v[22:23], v[26:27], v[8:9], v[22:23]
	v_fma_f64 v[24:25], v[26:27], v[10:11], -v[24:25]
	ds_read_b128 v[8:11], v152 offset:15120
	buffer_load_dword v31, off, s[36:39], 0 offset:392 ; 4-byte Folded Reload
	buffer_load_dword v32, off, s[36:39], 0 offset:396 ; 4-byte Folded Reload
	;; [unrolled: 1-line block ×4, first 2 shown]
	v_addc_co_u32_e32 v13, vcc, v13, v30, vcc
	global_store_dwordx4 v[12:13], v[0:3], off
	v_mov_b32_e32 v30, s5
	v_mul_f64 v[0:1], v[22:23], s[0:1]
	v_mul_f64 v[2:3], v[24:25], s[0:1]
	v_add_co_u32_e32 v12, vcc, s4, v12
	v_addc_co_u32_e32 v13, vcc, v13, v30, vcc
	v_mov_b32_e32 v30, s2
	s_waitcnt vmcnt(1) lgkmcnt(1)
	v_mul_f64 v[26:27], v[33:34], v[6:7]
	v_mul_f64 v[28:29], v[33:34], v[4:5]
	v_fma_f64 v[4:5], v[31:32], v[4:5], v[26:27]
	v_fma_f64 v[6:7], v[31:32], v[6:7], -v[28:29]
	buffer_load_dword v26, off, s[36:39], 0 offset:376 ; 4-byte Folded Reload
	buffer_load_dword v27, off, s[36:39], 0 offset:380 ; 4-byte Folded Reload
	;; [unrolled: 1-line block ×4, first 2 shown]
	s_waitcnt vmcnt(0)
	v_mul_f64 v[22:23], v[28:29], v[20:21]
	v_mul_f64 v[24:25], v[28:29], v[18:19]
	global_store_dwordx4 v[12:13], v[0:3], off
	v_add_co_u32_e32 v12, vcc, s3, v12
	v_mul_f64 v[0:1], v[4:5], s[0:1]
	v_mul_f64 v[2:3], v[6:7], s[0:1]
	ds_read_b128 v[4:7], v152 offset:6048
	v_fma_f64 v[22:23], v[26:27], v[18:19], v[22:23]
	v_fma_f64 v[24:25], v[26:27], v[20:21], -v[24:25]
	ds_read_b128 v[18:21], v152 offset:7056
	buffer_load_dword v31, off, s[36:39], 0 offset:360 ; 4-byte Folded Reload
	buffer_load_dword v32, off, s[36:39], 0 offset:364 ; 4-byte Folded Reload
	buffer_load_dword v33, off, s[36:39], 0 offset:368 ; 4-byte Folded Reload
	buffer_load_dword v34, off, s[36:39], 0 offset:372 ; 4-byte Folded Reload
	v_addc_co_u32_e32 v13, vcc, v13, v30, vcc
	global_store_dwordx4 v[12:13], v[0:3], off
	v_add_co_u32_e32 v12, vcc, s3, v12
	v_mul_f64 v[0:1], v[22:23], s[0:1]
	v_mul_f64 v[2:3], v[24:25], s[0:1]
	v_addc_co_u32_e32 v13, vcc, v13, v30, vcc
	v_mov_b32_e32 v30, s5
	s_waitcnt vmcnt(1) lgkmcnt(1)
	v_mul_f64 v[26:27], v[33:34], v[6:7]
	v_mul_f64 v[28:29], v[33:34], v[4:5]
	v_fma_f64 v[4:5], v[31:32], v[4:5], v[26:27]
	v_fma_f64 v[6:7], v[31:32], v[6:7], -v[28:29]
	buffer_load_dword v26, off, s[36:39], 0 offset:344 ; 4-byte Folded Reload
	buffer_load_dword v27, off, s[36:39], 0 offset:348 ; 4-byte Folded Reload
	buffer_load_dword v28, off, s[36:39], 0 offset:352 ; 4-byte Folded Reload
	buffer_load_dword v29, off, s[36:39], 0 offset:356 ; 4-byte Folded Reload
	s_waitcnt vmcnt(0)
	v_mul_f64 v[22:23], v[28:29], v[10:11]
	v_mul_f64 v[24:25], v[28:29], v[8:9]
	global_store_dwordx4 v[12:13], v[0:3], off
	v_add_co_u32_e32 v12, vcc, s4, v12
	v_mul_f64 v[0:1], v[4:5], s[0:1]
	v_mul_f64 v[2:3], v[6:7], s[0:1]
	ds_read_b128 v[4:7], v152 offset:24192
	v_fma_f64 v[22:23], v[26:27], v[8:9], v[22:23]
	v_fma_f64 v[24:25], v[26:27], v[10:11], -v[24:25]
	ds_read_b128 v[8:11], v152 offset:25200
	buffer_load_dword v31, off, s[36:39], 0 offset:312 ; 4-byte Folded Reload
	buffer_load_dword v32, off, s[36:39], 0 offset:316 ; 4-byte Folded Reload
	;; [unrolled: 1-line block ×4, first 2 shown]
	v_addc_co_u32_e32 v13, vcc, v13, v30, vcc
	global_store_dwordx4 v[12:13], v[0:3], off
	v_mov_b32_e32 v30, s2
	v_mul_f64 v[0:1], v[22:23], s[0:1]
	v_mul_f64 v[2:3], v[24:25], s[0:1]
	v_add_co_u32_e32 v12, vcc, s3, v12
	v_addc_co_u32_e32 v13, vcc, v13, v30, vcc
	s_waitcnt vmcnt(1) lgkmcnt(1)
	v_mul_f64 v[26:27], v[33:34], v[6:7]
	v_mul_f64 v[28:29], v[33:34], v[4:5]
	v_fma_f64 v[4:5], v[31:32], v[4:5], v[26:27]
	v_fma_f64 v[6:7], v[31:32], v[6:7], -v[28:29]
	buffer_load_dword v26, off, s[36:39], 0 offset:296 ; 4-byte Folded Reload
	buffer_load_dword v27, off, s[36:39], 0 offset:300 ; 4-byte Folded Reload
	buffer_load_dword v28, off, s[36:39], 0 offset:304 ; 4-byte Folded Reload
	buffer_load_dword v29, off, s[36:39], 0 offset:308 ; 4-byte Folded Reload
	s_waitcnt vmcnt(0)
	v_mul_f64 v[22:23], v[28:29], v[20:21]
	v_mul_f64 v[24:25], v[28:29], v[18:19]
	global_store_dwordx4 v[12:13], v[0:3], off
	v_add_co_u32_e32 v12, vcc, s3, v12
	v_mul_f64 v[0:1], v[4:5], s[0:1]
	v_mul_f64 v[2:3], v[6:7], s[0:1]
	ds_read_b128 v[4:7], v152 offset:16128
	v_fma_f64 v[22:23], v[26:27], v[18:19], v[22:23]
	v_fma_f64 v[24:25], v[26:27], v[20:21], -v[24:25]
	ds_read_b128 v[18:21], v152 offset:17136
	buffer_load_dword v31, off, s[36:39], 0 offset:280 ; 4-byte Folded Reload
	buffer_load_dword v32, off, s[36:39], 0 offset:284 ; 4-byte Folded Reload
	buffer_load_dword v33, off, s[36:39], 0 offset:288 ; 4-byte Folded Reload
	buffer_load_dword v34, off, s[36:39], 0 offset:292 ; 4-byte Folded Reload
	v_addc_co_u32_e32 v13, vcc, v13, v30, vcc
	global_store_dwordx4 v[12:13], v[0:3], off
	v_mov_b32_e32 v30, s5
	v_mul_f64 v[0:1], v[22:23], s[0:1]
	v_mul_f64 v[2:3], v[24:25], s[0:1]
	v_add_co_u32_e32 v12, vcc, s4, v12
	v_addc_co_u32_e32 v13, vcc, v13, v30, vcc
	s_waitcnt vmcnt(1) lgkmcnt(1)
	v_mul_f64 v[26:27], v[33:34], v[6:7]
	v_mul_f64 v[28:29], v[33:34], v[4:5]
	v_fma_f64 v[4:5], v[31:32], v[4:5], v[26:27]
	v_fma_f64 v[6:7], v[31:32], v[6:7], -v[28:29]
	buffer_load_dword v31, off, s[36:39], 0 offset:264 ; 4-byte Folded Reload
	buffer_load_dword v32, off, s[36:39], 0 offset:268 ; 4-byte Folded Reload
	;; [unrolled: 1-line block ×4, first 2 shown]
	v_mov_b32_e32 v26, s2
	global_store_dwordx4 v[12:13], v[0:3], off
	buffer_load_dword v27, off, s[36:39], 0 offset:248 ; 4-byte Folded Reload
	buffer_load_dword v28, off, s[36:39], 0 offset:252 ; 4-byte Folded Reload
	;; [unrolled: 1-line block ×4, first 2 shown]
	v_add_co_u32_e32 v12, vcc, s3, v12
	v_mul_f64 v[0:1], v[4:5], s[0:1]
	v_mul_f64 v[2:3], v[6:7], s[0:1]
	v_addc_co_u32_e32 v13, vcc, v13, v26, vcc
	v_mov_b32_e32 v26, s5
	global_store_dwordx4 v[12:13], v[0:3], off
	v_add_co_u32_e32 v12, vcc, s3, v12
	s_waitcnt vmcnt(6)
	v_mul_f64 v[22:23], v[33:34], v[10:11]
	v_mul_f64 v[24:25], v[33:34], v[8:9]
	v_fma_f64 v[4:5], v[31:32], v[8:9], v[22:23]
	v_fma_f64 v[6:7], v[31:32], v[10:11], -v[24:25]
	s_waitcnt vmcnt(1)
	v_mul_f64 v[8:9], v[29:30], v[16:17]
	v_mul_f64 v[10:11], v[29:30], v[14:15]
	v_mov_b32_e32 v22, s2
	v_addc_co_u32_e32 v13, vcc, v13, v22, vcc
	v_mul_f64 v[0:1], v[4:5], s[0:1]
	v_mul_f64 v[2:3], v[6:7], s[0:1]
	v_fma_f64 v[8:9], v[27:28], v[14:15], v[8:9]
	v_fma_f64 v[10:11], v[27:28], v[16:17], -v[10:11]
	ds_read_b128 v[4:7], v152 offset:26208
	buffer_load_dword v27, off, s[36:39], 0 offset:200 ; 4-byte Folded Reload
	buffer_load_dword v28, off, s[36:39], 0 offset:204 ; 4-byte Folded Reload
	;; [unrolled: 1-line block ×4, first 2 shown]
	s_waitcnt vmcnt(0) lgkmcnt(1)
	v_mul_f64 v[14:15], v[29:30], v[20:21]
	v_mul_f64 v[16:17], v[29:30], v[18:19]
	buffer_load_dword v29, off, s[36:39], 0 offset:232 ; 4-byte Folded Reload
	buffer_load_dword v30, off, s[36:39], 0 offset:236 ; 4-byte Folded Reload
	;; [unrolled: 1-line block ×4, first 2 shown]
	s_waitcnt vmcnt(0) lgkmcnt(0)
	v_mul_f64 v[22:23], v[31:32], v[6:7]
	v_mul_f64 v[24:25], v[31:32], v[4:5]
	global_store_dwordx4 v[12:13], v[0:3], off
	v_add_co_u32_e32 v12, vcc, s4, v12
	v_mul_f64 v[0:1], v[8:9], s[0:1]
	v_mul_f64 v[2:3], v[10:11], s[0:1]
	v_fma_f64 v[8:9], v[27:28], v[18:19], v[14:15]
	v_fma_f64 v[10:11], v[27:28], v[20:21], -v[16:17]
	v_fma_f64 v[4:5], v[29:30], v[4:5], v[22:23]
	v_fma_f64 v[6:7], v[29:30], v[6:7], -v[24:25]
	v_addc_co_u32_e32 v13, vcc, v13, v26, vcc
	global_store_dwordx4 v[12:13], v[0:3], off
	s_nop 0
	v_mul_f64 v[0:1], v[8:9], s[0:1]
	v_mul_f64 v[2:3], v[10:11], s[0:1]
	;; [unrolled: 1-line block ×4, first 2 shown]
	v_mov_b32_e32 v9, s2
	v_add_co_u32_e32 v8, vcc, s3, v12
	v_addc_co_u32_e32 v9, vcc, v13, v9, vcc
	global_store_dwordx4 v[8:9], v[0:3], off
	s_nop 0
	v_mov_b32_e32 v1, s2
	v_add_co_u32_e32 v0, vcc, s3, v8
	v_addc_co_u32_e32 v1, vcc, v9, v1, vcc
	global_store_dwordx4 v[0:1], v[4:7], off
.LBB0_10:
	s_endpgm
	.section	.rodata,"a",@progbits
	.p2align	6, 0x0
	.amdhsa_kernel bluestein_single_fwd_len1701_dim1_dp_op_CI_CI
		.amdhsa_group_segment_fixed_size 27216
		.amdhsa_private_segment_fixed_size 1756
		.amdhsa_kernarg_size 104
		.amdhsa_user_sgpr_count 6
		.amdhsa_user_sgpr_private_segment_buffer 1
		.amdhsa_user_sgpr_dispatch_ptr 0
		.amdhsa_user_sgpr_queue_ptr 0
		.amdhsa_user_sgpr_kernarg_segment_ptr 1
		.amdhsa_user_sgpr_dispatch_id 0
		.amdhsa_user_sgpr_flat_scratch_init 0
		.amdhsa_user_sgpr_private_segment_size 0
		.amdhsa_uses_dynamic_stack 0
		.amdhsa_system_sgpr_private_segment_wavefront_offset 1
		.amdhsa_system_sgpr_workgroup_id_x 1
		.amdhsa_system_sgpr_workgroup_id_y 0
		.amdhsa_system_sgpr_workgroup_id_z 0
		.amdhsa_system_sgpr_workgroup_info 0
		.amdhsa_system_vgpr_workitem_id 0
		.amdhsa_next_free_vgpr 256
		.amdhsa_next_free_sgpr 40
		.amdhsa_reserve_vcc 1
		.amdhsa_reserve_flat_scratch 0
		.amdhsa_float_round_mode_32 0
		.amdhsa_float_round_mode_16_64 0
		.amdhsa_float_denorm_mode_32 3
		.amdhsa_float_denorm_mode_16_64 3
		.amdhsa_dx10_clamp 1
		.amdhsa_ieee_mode 1
		.amdhsa_fp16_overflow 0
		.amdhsa_exception_fp_ieee_invalid_op 0
		.amdhsa_exception_fp_denorm_src 0
		.amdhsa_exception_fp_ieee_div_zero 0
		.amdhsa_exception_fp_ieee_overflow 0
		.amdhsa_exception_fp_ieee_underflow 0
		.amdhsa_exception_fp_ieee_inexact 0
		.amdhsa_exception_int_div_zero 0
	.end_amdhsa_kernel
	.text
.Lfunc_end0:
	.size	bluestein_single_fwd_len1701_dim1_dp_op_CI_CI, .Lfunc_end0-bluestein_single_fwd_len1701_dim1_dp_op_CI_CI
                                        ; -- End function
	.section	.AMDGPU.csdata,"",@progbits
; Kernel info:
; codeLenInByte = 44564
; NumSgprs: 44
; NumVgprs: 256
; ScratchSize: 1756
; MemoryBound: 0
; FloatMode: 240
; IeeeMode: 1
; LDSByteSize: 27216 bytes/workgroup (compile time only)
; SGPRBlocks: 5
; VGPRBlocks: 63
; NumSGPRsForWavesPerEU: 44
; NumVGPRsForWavesPerEU: 256
; Occupancy: 1
; WaveLimiterHint : 1
; COMPUTE_PGM_RSRC2:SCRATCH_EN: 1
; COMPUTE_PGM_RSRC2:USER_SGPR: 6
; COMPUTE_PGM_RSRC2:TRAP_HANDLER: 0
; COMPUTE_PGM_RSRC2:TGID_X_EN: 1
; COMPUTE_PGM_RSRC2:TGID_Y_EN: 0
; COMPUTE_PGM_RSRC2:TGID_Z_EN: 0
; COMPUTE_PGM_RSRC2:TIDIG_COMP_CNT: 0
	.type	__hip_cuid_6d72127c5cb97ed3,@object ; @__hip_cuid_6d72127c5cb97ed3
	.section	.bss,"aw",@nobits
	.globl	__hip_cuid_6d72127c5cb97ed3
__hip_cuid_6d72127c5cb97ed3:
	.byte	0                               ; 0x0
	.size	__hip_cuid_6d72127c5cb97ed3, 1

	.ident	"AMD clang version 19.0.0git (https://github.com/RadeonOpenCompute/llvm-project roc-6.4.0 25133 c7fe45cf4b819c5991fe208aaa96edf142730f1d)"
	.section	".note.GNU-stack","",@progbits
	.addrsig
	.addrsig_sym __hip_cuid_6d72127c5cb97ed3
	.amdgpu_metadata
---
amdhsa.kernels:
  - .args:
      - .actual_access:  read_only
        .address_space:  global
        .offset:         0
        .size:           8
        .value_kind:     global_buffer
      - .actual_access:  read_only
        .address_space:  global
        .offset:         8
        .size:           8
        .value_kind:     global_buffer
      - .actual_access:  read_only
        .address_space:  global
        .offset:         16
        .size:           8
        .value_kind:     global_buffer
      - .actual_access:  read_only
        .address_space:  global
        .offset:         24
        .size:           8
        .value_kind:     global_buffer
      - .actual_access:  read_only
        .address_space:  global
        .offset:         32
        .size:           8
        .value_kind:     global_buffer
      - .offset:         40
        .size:           8
        .value_kind:     by_value
      - .address_space:  global
        .offset:         48
        .size:           8
        .value_kind:     global_buffer
      - .address_space:  global
        .offset:         56
        .size:           8
        .value_kind:     global_buffer
      - .address_space:  global
        .offset:         64
        .size:           8
        .value_kind:     global_buffer
      - .address_space:  global
        .offset:         72
        .size:           8
        .value_kind:     global_buffer
      - .offset:         80
        .size:           4
        .value_kind:     by_value
      - .address_space:  global
        .offset:         88
        .size:           8
        .value_kind:     global_buffer
      - .address_space:  global
        .offset:         96
        .size:           8
        .value_kind:     global_buffer
    .group_segment_fixed_size: 27216
    .kernarg_segment_align: 8
    .kernarg_segment_size: 104
    .language:       OpenCL C
    .language_version:
      - 2
      - 0
    .max_flat_workgroup_size: 63
    .name:           bluestein_single_fwd_len1701_dim1_dp_op_CI_CI
    .private_segment_fixed_size: 1756
    .sgpr_count:     44
    .sgpr_spill_count: 0
    .symbol:         bluestein_single_fwd_len1701_dim1_dp_op_CI_CI.kd
    .uniform_work_group_size: 1
    .uses_dynamic_stack: false
    .vgpr_count:     256
    .vgpr_spill_count: 442
    .wavefront_size: 64
amdhsa.target:   amdgcn-amd-amdhsa--gfx906
amdhsa.version:
  - 1
  - 2
...

	.end_amdgpu_metadata
